;; amdgpu-corpus repo=ROCm/rocFFT kind=compiled arch=gfx950 opt=O3
	.text
	.amdgcn_target "amdgcn-amd-amdhsa--gfx950"
	.amdhsa_code_object_version 6
	.protected	bluestein_single_back_len1350_dim1_sp_op_CI_CI ; -- Begin function bluestein_single_back_len1350_dim1_sp_op_CI_CI
	.globl	bluestein_single_back_len1350_dim1_sp_op_CI_CI
	.p2align	8
	.type	bluestein_single_back_len1350_dim1_sp_op_CI_CI,@function
bluestein_single_back_len1350_dim1_sp_op_CI_CI: ; @bluestein_single_back_len1350_dim1_sp_op_CI_CI
; %bb.0:
	s_load_dwordx4 s[12:15], s[0:1], 0x28
	v_mul_u32_u24_e32 v1, 0x1e6, v0
	v_mov_b32_e32 v83, 0
	v_add_u32_sdwa v94, s2, v1 dst_sel:DWORD dst_unused:UNUSED_PAD src0_sel:DWORD src1_sel:WORD_1
	v_mov_b32_e32 v95, v83
	s_waitcnt lgkmcnt(0)
	v_cmp_gt_u64_e32 vcc, s[12:13], v[94:95]
	s_and_saveexec_b64 s[2:3], vcc
	s_cbranch_execz .LBB0_26
; %bb.1:
	s_load_dwordx4 s[4:7], s[0:1], 0x18
	s_load_dwordx4 s[8:11], s[0:1], 0x0
	v_mov_b32_e32 v2, s14
	v_mov_b32_e32 v3, s15
	s_movk_i32 s2, 0x87
	s_waitcnt lgkmcnt(0)
	s_load_dwordx4 s[12:15], s[4:5], 0x0
	v_mul_lo_u16_sdwa v1, v1, s2 dst_sel:DWORD dst_unused:UNUSED_PAD src0_sel:WORD_1 src1_sel:DWORD
	v_sub_u16_e32 v82, v0, v1
	v_mov_b32_e32 v22, 0x870
	v_lshlrev_b32_e32 v80, 3, v82
	s_waitcnt lgkmcnt(0)
	v_mad_u64_u32 v[0:1], s[2:3], s14, v94, 0
	v_mov_b32_e32 v4, v1
	v_mad_u64_u32 v[4:5], s[2:3], s15, v94, v[4:5]
	v_mov_b32_e32 v1, v4
	v_mad_u64_u32 v[4:5], s[2:3], s12, v82, 0
	v_mov_b32_e32 v6, v5
	v_mad_u64_u32 v[6:7], s[2:3], s13, v82, v[6:7]
	v_mov_b32_e32 v5, v6
	v_lshl_add_u64 v[0:1], v[0:1], 3, v[2:3]
	v_lshl_add_u64 v[0:1], v[4:5], 3, v[0:1]
	global_load_dwordx2 v[2:3], v[0:1], off
	v_mad_u64_u32 v[0:1], s[2:3], s12, v22, v[0:1]
	s_mul_i32 s4, s13, 0x870
	v_add_u32_e32 v1, s4, v1
	v_mov_b32_e32 v81, v83
	v_mad_u64_u32 v[6:7], s[2:3], s12, v22, v[0:1]
	v_lshl_add_u64 v[4:5], s[8:9], 0, v[80:81]
	s_movk_i32 s2, 0x1000
	v_add_co_u32_e32 v8, vcc, s2, v4
	global_load_dwordx2 v[104:105], v80, s[8:9]
	global_load_dwordx2 v[102:103], v80, s[8:9] offset:2160
	v_add_u32_e32 v7, s4, v7
	v_addc_co_u32_e32 v9, vcc, 0, v5, vcc
	global_load_dwordx2 v[98:99], v[8:9], off offset:224
	v_mad_u64_u32 v[10:11], s[2:3], s12, v22, v[6:7]
	global_load_dwordx2 v[90:91], v[8:9], off offset:2384
	global_load_dwordx2 v[12:13], v[0:1], off
	v_add_u32_e32 v11, s4, v11
	v_mad_u64_u32 v[0:1], s[2:3], s12, v22, v[10:11]
	v_add_u32_e32 v1, s4, v1
	global_load_dwordx2 v[14:15], v[6:7], off
	global_load_dwordx2 v[16:17], v[10:11], off
	;; [unrolled: 1-line block ×3, first 2 shown]
	s_movk_i32 s2, 0x2000
	v_mov_b32_e32 v6, 0xffffe278
	v_add_co_u32_e32 v4, vcc, s2, v4
	v_mad_u64_u32 v[0:1], s[2:3], s12, v6, v[0:1]
	s_nop 0
	v_addc_co_u32_e32 v5, vcc, 0, v5, vcc
	s_mul_i32 s2, s13, 0xffffe278
	global_load_dwordx2 v[92:93], v[4:5], off offset:448
	s_sub_i32 s2, s2, s12
	v_add_u32_e32 v1, s2, v1
	global_load_dwordx2 v[6:7], v[0:1], off
	global_load_dwordx2 v[88:89], v80, s[8:9] offset:3240
	global_load_dwordx2 v[100:101], v80, s[8:9] offset:1080
	v_mad_u64_u32 v[0:1], s[2:3], s12, v22, v[0:1]
	v_add_u32_e32 v1, s4, v1
	global_load_dwordx2 v[10:11], v[0:1], off
	v_mad_u64_u32 v[0:1], s[2:3], s12, v22, v[0:1]
	v_add_u32_e32 v1, s4, v1
	global_load_dwordx2 v[20:21], v[0:1], off
	global_load_dwordx2 v[84:85], v[8:9], off offset:3464
	global_load_dwordx2 v[96:97], v[8:9], off offset:1304
	v_mad_u64_u32 v[0:1], s[2:3], s12, v22, v[0:1]
	v_add_u32_e32 v1, s4, v1
	global_load_dwordx2 v[8:9], v[0:1], off
	v_mad_u64_u32 v[0:1], s[2:3], s12, v22, v[0:1]
	v_add_u32_e32 v1, s4, v1
	global_load_dwordx2 v[86:87], v[4:5], off offset:1528
	global_load_dwordx2 v[22:23], v[0:1], off
	v_add_u32_e32 v68, 0x800, v80
	v_add_u32_e32 v69, 0x1000, v80
	;; [unrolled: 1-line block ×4, first 2 shown]
	s_load_dwordx4 s[4:7], s[6:7], 0x0
	s_mov_b32 s2, 0x3f737871
	s_mov_b32 s12, 0x3f167918
	;; [unrolled: 1-line block ×3, first 2 shown]
	s_mov_b64 s[16:17], 0x87
	v_lshl_add_u64 v[124:125], v[82:83], 0, s[16:17]
	s_mov_b32 s18, 0xbf737871
	s_mov_b32 s19, s2
	v_cmp_gt_u16_e32 vcc, 45, v82
	s_waitcnt vmcnt(18)
	v_mul_f32_e32 v0, v3, v105
	v_mul_f32_e32 v1, v2, v105
	v_fmac_f32_e32 v0, v2, v104
	v_fma_f32 v1, v3, v104, -v1
	s_waitcnt vmcnt(14)
	v_mul_f32_e32 v2, v13, v103
	v_mul_f32_e32 v3, v12, v103
	v_fmac_f32_e32 v2, v12, v102
	v_fma_f32 v3, v13, v102, -v3
	ds_write_b64 v80, v[2:3] offset:2160
	s_waitcnt vmcnt(13)
	v_mul_f32_e32 v2, v15, v99
	v_mul_f32_e32 v3, v14, v99
	v_fmac_f32_e32 v2, v14, v98
	v_fma_f32 v3, v15, v98, -v3
	ds_write_b64 v80, v[2:3] offset:4320
	;; [unrolled: 6-line block ×4, first 2 shown]
	s_waitcnt vmcnt(7)
	v_mul_f32_e32 v2, v7, v101
	v_mul_f32_e32 v3, v6, v101
	v_fmac_f32_e32 v2, v6, v100
	v_fma_f32 v3, v7, v100, -v3
	ds_write2_b64 v80, v[0:1], v[2:3] offset1:135
	s_waitcnt vmcnt(6)
	v_mul_f32_e32 v0, v11, v89
	v_mul_f32_e32 v1, v10, v89
	v_fmac_f32_e32 v0, v10, v88
	v_fma_f32 v1, v11, v88, -v1
	ds_write_b64 v80, v[0:1] offset:3240
	s_waitcnt vmcnt(3)
	v_mul_f32_e32 v0, v21, v97
	v_mul_f32_e32 v1, v20, v97
	v_fmac_f32_e32 v0, v20, v96
	v_fma_f32 v1, v21, v96, -v1
	ds_write_b64 v80, v[0:1] offset:5400
	;; [unrolled: 6-line block ×4, first 2 shown]
	s_waitcnt lgkmcnt(0)
	s_barrier
	ds_read2_b64 v[4:7], v68 offset0:14 offset1:149
	ds_read2_b64 v[8:11], v69 offset0:28 offset1:163
	;; [unrolled: 1-line block ×4, first 2 shown]
	ds_read2_b64 v[0:3], v80 offset1:135
	s_waitcnt lgkmcnt(0)
	v_pk_add_f32 v[26:27], v[4:5], v[8:9] neg_lo:[0,1] neg_hi:[0,1]
	v_pk_add_f32 v[20:21], v[8:9], v[12:13]
	v_pk_add_f32 v[22:23], v[4:5], v[16:17] neg_lo:[0,1] neg_hi:[0,1]
	v_pk_fma_f32 v[20:21], v[20:21], 0.5, v[0:1] op_sel_hi:[1,0,1] neg_lo:[1,0,0] neg_hi:[1,0,0]
	v_pk_mul_f32 v[24:25], v[22:23], s[2:3] op_sel_hi:[1,0]
	v_pk_add_f32 v[28:29], v[16:17], v[12:13] neg_lo:[0,1] neg_hi:[0,1]
	s_barrier
	v_pk_add_f32 v[26:27], v[26:27], v[28:29]
	v_pk_add_f32 v[28:29], v[20:21], v[24:25] op_sel:[0,1] op_sel_hi:[1,0]
	v_pk_add_f32 v[20:21], v[20:21], v[24:25] op_sel:[0,1] op_sel_hi:[1,0] neg_lo:[0,1] neg_hi:[0,1]
	v_pk_add_f32 v[24:25], v[8:9], v[12:13] neg_lo:[0,1] neg_hi:[0,1]
	s_nop 0
	v_pk_mul_f32 v[30:31], v[24:25], s[12:13] op_sel_hi:[1,0]
	s_nop 0
	v_pk_add_f32 v[20:21], v[20:21], v[30:31] op_sel:[0,1] op_sel_hi:[1,0] neg_lo:[0,1] neg_hi:[0,1]
	v_pk_add_f32 v[28:29], v[28:29], v[30:31] op_sel:[0,1] op_sel_hi:[1,0]
	v_mul_lo_u16_e32 v30, 5, v82
	v_lshlrev_b32_e32 v81, 3, v30
	v_pk_add_f32 v[30:31], v[0:1], v[4:5]
	v_mov_b32_e32 v33, v21
	v_pk_add_f32 v[30:31], v[30:31], v[8:9]
	v_pk_add_f32 v[8:9], v[8:9], v[4:5] neg_lo:[0,1] neg_hi:[0,1]
	v_pk_add_f32 v[4:5], v[4:5], v[16:17]
	v_pk_add_f32 v[30:31], v[30:31], v[12:13]
	v_pk_add_f32 v[12:13], v[12:13], v[16:17] neg_lo:[0,1] neg_hi:[0,1]
	v_pk_fma_f32 v[0:1], v[4:5], 0.5, v[0:1] op_sel_hi:[1,0,1] neg_lo:[1,0,0] neg_hi:[1,0,0]
	v_pk_mul_f32 v[4:5], v[24:25], s[2:3] op_sel_hi:[1,0]
	v_pk_add_f32 v[8:9], v[8:9], v[12:13]
	v_pk_add_f32 v[12:13], v[0:1], v[4:5] op_sel:[0,1] op_sel_hi:[1,0] neg_lo:[0,1] neg_hi:[0,1]
	v_pk_add_f32 v[0:1], v[0:1], v[4:5] op_sel:[0,1] op_sel_hi:[1,0]
	v_pk_mul_f32 v[4:5], v[22:23], s[12:13] op_sel_hi:[1,0]
	v_mov_b32_e32 v21, v29
	v_pk_add_f32 v[0:1], v[0:1], v[4:5] op_sel:[0,1] op_sel_hi:[1,0] neg_lo:[0,1] neg_hi:[0,1]
	v_pk_add_f32 v[4:5], v[12:13], v[4:5] op_sel:[0,1] op_sel_hi:[1,0]
	v_mov_b32_e32 v13, v1
	v_mov_b32_e32 v12, v4
	;; [unrolled: 1-line block ×3, first 2 shown]
	v_pk_fma_f32 v[4:5], v[8:9], s[14:15], v[12:13] op_sel_hi:[1,0,1]
	v_pk_fma_f32 v[0:1], v[8:9], s[14:15], v[0:1] op_sel_hi:[1,0,1]
	ds_write2_b64 v81, v[4:5], v[0:1] offset0:2 offset1:3
	v_pk_fma_f32 v[0:1], v[26:27], s[14:15], v[20:21] op_sel_hi:[1,0,1]
	ds_write_b64 v81, v[0:1] offset:32
	v_pk_add_f32 v[0:1], v[10:11], v[14:15]
	v_pk_add_f32 v[4:5], v[6:7], v[18:19] neg_lo:[0,1] neg_hi:[0,1]
	v_pk_add_f32 v[8:9], v[6:7], v[10:11] neg_lo:[0,1] neg_hi:[0,1]
	v_pk_add_f32 v[12:13], v[18:19], v[14:15] neg_lo:[0,1] neg_hi:[0,1]
	v_pk_fma_f32 v[0:1], v[0:1], 0.5, v[2:3] op_sel_hi:[1,0,1] neg_lo:[1,0,0] neg_hi:[1,0,0]
	v_pk_add_f32 v[8:9], v[8:9], v[12:13]
	v_pk_mul_f32 v[12:13], v[4:5], s[2:3] op_sel_hi:[1,0]
	v_pk_add_f32 v[30:31], v[30:31], v[16:17]
	v_pk_add_f32 v[16:17], v[0:1], v[12:13] op_sel:[0,1] op_sel_hi:[1,0]
	v_pk_add_f32 v[0:1], v[0:1], v[12:13] op_sel:[0,1] op_sel_hi:[1,0] neg_lo:[0,1] neg_hi:[0,1]
	v_pk_add_f32 v[12:13], v[10:11], v[14:15] neg_lo:[0,1] neg_hi:[0,1]
	v_mov_b32_e32 v32, v28
	v_pk_mul_f32 v[20:21], v[12:13], s[12:13] op_sel_hi:[1,0]
	v_pk_fma_f32 v[32:33], v[26:27], s[14:15], v[32:33] op_sel_hi:[1,0,1]
	v_pk_add_f32 v[0:1], v[0:1], v[20:21] op_sel:[0,1] op_sel_hi:[1,0] neg_lo:[0,1] neg_hi:[0,1]
	v_pk_add_f32 v[16:17], v[16:17], v[20:21] op_sel:[0,1] op_sel_hi:[1,0]
	v_mul_u32_u24_e32 v20, 5, v124
	v_lshlrev_b32_e32 v95, 3, v20
	v_pk_add_f32 v[20:21], v[2:3], v[6:7]
	v_mov_b32_e32 v23, v1
	v_pk_add_f32 v[20:21], v[20:21], v[10:11]
	v_pk_add_f32 v[10:11], v[10:11], v[6:7] neg_lo:[0,1] neg_hi:[0,1]
	v_pk_add_f32 v[6:7], v[6:7], v[18:19]
	v_mov_b32_e32 v1, v17
	v_pk_fma_f32 v[2:3], v[6:7], 0.5, v[2:3] op_sel_hi:[1,0,1] neg_lo:[1,0,0] neg_hi:[1,0,0]
	v_pk_add_f32 v[6:7], v[14:15], v[18:19] neg_lo:[0,1] neg_hi:[0,1]
	v_pk_fma_f32 v[0:1], v[8:9], s[14:15], v[0:1] op_sel_hi:[1,0,1]
	v_pk_add_f32 v[6:7], v[10:11], v[6:7]
	v_pk_mul_f32 v[10:11], v[12:13], s[2:3] op_sel_hi:[1,0]
	s_movk_i32 s3, 0xcd
	ds_write2_b64 v81, v[30:31], v[32:33] offset1:1
	ds_write_b64 v95, v[0:1] offset:32
	v_mul_lo_u16_sdwa v0, v82, s3 dst_sel:DWORD dst_unused:UNUSED_PAD src0_sel:BYTE_0 src1_sel:DWORD
	v_lshrrev_b16_e32 v62, 10, v0
	v_pk_mul_f32 v[4:5], v[4:5], s[12:13] op_sel_hi:[1,0]
	v_pk_add_f32 v[12:13], v[2:3], v[10:11] op_sel:[0,1] op_sel_hi:[1,0] neg_lo:[0,1] neg_hi:[0,1]
	v_pk_add_f32 v[2:3], v[2:3], v[10:11] op_sel:[0,1] op_sel_hi:[1,0]
	v_mul_lo_u16_e32 v0, 5, v62
	v_pk_add_f32 v[2:3], v[2:3], v[4:5] op_sel:[0,1] op_sel_hi:[1,0] neg_lo:[0,1] neg_hi:[0,1]
	v_pk_add_f32 v[4:5], v[12:13], v[4:5] op_sel:[0,1] op_sel_hi:[1,0]
	v_sub_u16_e32 v0, v82, v0
	v_pk_add_f32 v[20:21], v[20:21], v[14:15]
	v_mov_b32_e32 v22, v16
	v_mov_b32_e32 v10, v4
	;; [unrolled: 1-line block ×4, first 2 shown]
	v_and_b32_e32 v63, 0xff, v0
	s_movk_i32 s3, 0x48
	v_mov_b64_e32 v[0:1], s[10:11]
	v_pk_add_f32 v[20:21], v[20:21], v[18:19]
	v_pk_fma_f32 v[22:23], v[8:9], s[14:15], v[22:23] op_sel_hi:[1,0,1]
	v_pk_fma_f32 v[10:11], v[6:7], s[14:15], v[10:11] op_sel_hi:[1,0,1]
	v_pk_fma_f32 v[2:3], v[6:7], s[14:15], v[2:3] op_sel_hi:[1,0,1]
	v_mad_u64_u32 v[16:17], s[16:17], v63, s3, v[0:1]
	ds_write2_b64 v95, v[20:21], v[22:23] offset1:1
	ds_write2_b64 v95, v[10:11], v[2:3] offset0:2 offset1:3
	s_waitcnt lgkmcnt(0)
	s_barrier
	global_load_dwordx4 v[0:3], v[16:17], off offset:16
	global_load_dwordx4 v[4:7], v[16:17], off
	global_load_dwordx4 v[8:11], v[16:17], off offset:32
	global_load_dwordx4 v[12:15], v[16:17], off offset:48
	global_load_dwordx2 v[106:107], v[16:17], off offset:64
	ds_read2_b64 v[16:19], v68 offset0:14 offset1:149
	s_mov_b32 s16, 0x3f4f1bbd
	s_waitcnt vmcnt(4)
	v_mov_b32_e32 v108, v0
	s_waitcnt vmcnt(3)
	v_mov_b32_e32 v120, v7
	s_waitcnt lgkmcnt(0)
	v_pk_mul_f32 v[20:21], v[16:17], v[120:121] op_sel_hi:[1,0]
	v_mov_b32_e32 v118, v3
	v_pk_fma_f32 v[24:25], v[16:17], v[6:7], v[20:21] op_sel:[0,0,1] op_sel_hi:[1,1,0] neg_lo:[0,0,1] neg_hi:[0,0,1]
	v_pk_fma_f32 v[26:27], v[16:17], v[6:7], v[20:21] op_sel:[0,0,1] op_sel_hi:[1,0,0]
	ds_read2_b64 v[20:23], v69 offset0:28 offset1:163
	v_pk_mul_f32 v[16:17], v[18:19], v[0:1] op_sel:[0,1]
	s_waitcnt vmcnt(2)
	v_mov_b32_e32 v112, v8
	v_pk_fma_f32 v[28:29], v[18:19], v[108:109], v[16:17] op_sel:[0,0,1] op_sel_hi:[1,1,0] neg_lo:[0,0,1] neg_hi:[0,0,1]
	v_pk_fma_f32 v[30:31], v[18:19], v[0:1], v[16:17] op_sel:[0,0,1] op_sel_hi:[1,0,0]
	s_waitcnt lgkmcnt(0)
	v_pk_mul_f32 v[16:17], v[20:21], v[118:119] op_sel_hi:[1,0]
	v_mov_b32_e32 v114, v11
	v_pk_fma_f32 v[32:33], v[20:21], v[2:3], v[16:17] op_sel:[0,0,1] op_sel_hi:[1,1,0] neg_lo:[0,0,1] neg_hi:[0,0,1]
	v_pk_fma_f32 v[34:35], v[20:21], v[2:3], v[16:17] op_sel:[0,0,1] op_sel_hi:[1,0,0]
	ds_read2_b64 v[16:19], v36 offset0:42 offset1:177
	v_pk_mul_f32 v[20:21], v[22:23], v[8:9] op_sel:[0,1]
	s_waitcnt vmcnt(1)
	v_mov_b32_e32 v110, v12
	v_pk_fma_f32 v[36:37], v[22:23], v[112:113], v[20:21] op_sel:[0,0,1] op_sel_hi:[1,1,0] neg_lo:[0,0,1] neg_hi:[0,0,1]
	v_pk_fma_f32 v[38:39], v[22:23], v[8:9], v[20:21] op_sel:[0,0,1] op_sel_hi:[1,0,0]
	s_waitcnt lgkmcnt(0)
	v_pk_mul_f32 v[20:21], v[16:17], v[114:115] op_sel_hi:[1,0]
	v_mov_b32_e32 v116, v15
	v_pk_fma_f32 v[40:41], v[16:17], v[10:11], v[20:21] op_sel:[0,0,1] op_sel_hi:[1,1,0] neg_lo:[0,0,1] neg_hi:[0,0,1]
	v_pk_fma_f32 v[42:43], v[16:17], v[10:11], v[20:21] op_sel:[0,0,1] op_sel_hi:[1,0,0]
	ds_read2_b64 v[20:23], v44 offset0:56 offset1:191
	v_pk_mul_f32 v[16:17], v[18:19], v[12:13] op_sel:[0,1]
	v_mov_b32_e32 v122, v4
	v_pk_fma_f32 v[44:45], v[18:19], v[110:111], v[16:17] op_sel:[0,0,1] op_sel_hi:[1,1,0] neg_lo:[0,0,1] neg_hi:[0,0,1]
	v_pk_fma_f32 v[46:47], v[18:19], v[12:13], v[16:17] op_sel:[0,0,1] op_sel_hi:[1,0,0]
	s_waitcnt lgkmcnt(0)
	v_pk_mul_f32 v[16:17], v[20:21], v[116:117] op_sel_hi:[1,0]
	s_waitcnt vmcnt(0)
	v_pk_mul_f32 v[50:51], v[22:23], v[106:107] op_sel:[0,1]
	v_pk_fma_f32 v[48:49], v[20:21], v[14:15], v[16:17] op_sel:[0,0,1] op_sel_hi:[1,1,0] neg_lo:[0,0,1] neg_hi:[0,0,1]
	v_pk_fma_f32 v[20:21], v[20:21], v[14:15], v[16:17] op_sel:[0,0,1] op_sel_hi:[1,0,0]
	ds_read2_b64 v[16:19], v80 offset1:135
	v_pk_fma_f32 v[52:53], v[22:23], v[106:107], v[50:51] op_sel:[0,0,1] op_sel_hi:[1,1,0] neg_lo:[0,0,1] neg_hi:[0,0,1]
	v_pk_fma_f32 v[22:23], v[22:23], v[106:107], v[50:51] op_sel:[0,0,1] op_sel_hi:[1,0,0]
	v_mov_b32_e32 v25, v27
	v_mov_b32_e32 v33, v35
	s_waitcnt lgkmcnt(0)
	v_pk_mul_f32 v[50:51], v[18:19], v[4:5] op_sel:[0,1]
	v_mov_b32_e32 v41, v43
	v_pk_fma_f32 v[54:55], v[18:19], v[122:123], v[50:51] op_sel:[0,0,1] op_sel_hi:[1,1,0] neg_lo:[0,0,1] neg_hi:[0,0,1]
	v_pk_fma_f32 v[18:19], v[18:19], v[4:5], v[50:51] op_sel:[0,0,1] op_sel_hi:[1,0,0]
	v_mov_b32_e32 v49, v21
	v_mov_b32_e32 v55, v19
	v_pk_add_f32 v[18:19], v[32:33], v[40:41]
	v_pk_add_f32 v[20:21], v[24:25], v[48:49] neg_lo:[0,1] neg_hi:[0,1]
	v_mov_b32_e32 v53, v23
	v_pk_fma_f32 v[18:19], v[18:19], 0.5, v[16:17] op_sel_hi:[1,0,1] neg_lo:[1,0,0] neg_hi:[1,0,0]
	v_pk_mul_f32 v[22:23], v[20:21], s[2:3] op_sel_hi:[1,0]
	v_mov_b32_e32 v29, v31
	v_pk_add_f32 v[26:27], v[18:19], v[22:23] op_sel:[0,1] op_sel_hi:[1,0] neg_lo:[0,1] neg_hi:[0,1]
	v_pk_add_f32 v[18:19], v[18:19], v[22:23] op_sel:[0,1] op_sel_hi:[1,0]
	v_pk_add_f32 v[22:23], v[32:33], v[40:41] neg_lo:[0,1] neg_hi:[0,1]
	v_mov_b32_e32 v37, v39
	v_pk_mul_f32 v[30:31], v[22:23], s[12:13] op_sel_hi:[1,0]
	v_mov_b32_e32 v45, v47
	v_pk_add_f32 v[26:27], v[26:27], v[30:31] op_sel:[0,1] op_sel_hi:[1,0] neg_lo:[0,1] neg_hi:[0,1]
	v_pk_add_f32 v[18:19], v[30:31], v[18:19] op_sel:[1,0] op_sel_hi:[0,1]
	v_pk_add_f32 v[30:31], v[24:25], v[32:33] neg_lo:[0,1] neg_hi:[0,1]
	v_pk_add_f32 v[34:35], v[48:49], v[40:41] neg_lo:[0,1] neg_hi:[0,1]
	;; [unrolled: 1-line block ×3, first 2 shown]
	v_pk_add_f32 v[30:31], v[30:31], v[34:35]
	v_pk_add_f32 v[34:35], v[28:29], v[36:37] neg_lo:[0,1] neg_hi:[0,1]
	v_pk_add_f32 v[42:43], v[28:29], v[52:53] neg_lo:[0,1] neg_hi:[0,1]
	v_pk_add_f32 v[34:35], v[34:35], v[38:39]
	v_pk_add_f32 v[38:39], v[36:37], v[44:45]
	v_pk_mul_f32 v[46:47], v[42:43], s[2:3] op_sel_hi:[1,0]
	v_pk_fma_f32 v[38:39], v[38:39], 0.5, v[54:55] op_sel_hi:[1,0,1] neg_lo:[1,0,0] neg_hi:[1,0,0]
	v_mul_u32_u24_e32 v0, 50, v62
	v_pk_add_f32 v[50:51], v[38:39], v[46:47] op_sel:[0,1] op_sel_hi:[1,0]
	v_pk_add_f32 v[38:39], v[38:39], v[46:47] op_sel:[0,1] op_sel_hi:[1,0] neg_lo:[0,1] neg_hi:[0,1]
	v_pk_add_f32 v[46:47], v[36:37], v[44:45] neg_lo:[0,1] neg_hi:[0,1]
	v_add_lshl_u32 v140, v0, v63, 3
	v_pk_mul_f32 v[56:57], v[46:47], s[12:13] op_sel_hi:[1,0]
	v_mov_b32_e32 v62, v18
	v_pk_add_f32 v[38:39], v[38:39], v[56:57] op_sel:[0,1] op_sel_hi:[1,0] neg_lo:[0,1] neg_hi:[0,1]
	v_pk_add_f32 v[50:51], v[50:51], v[56:57] op_sel:[0,1] op_sel_hi:[1,0]
	v_mov_b32_e32 v57, v39
	v_mov_b32_e32 v56, v50
	v_pk_fma_f32 v[56:57], v[34:35], s[14:15], v[56:57] op_sel_hi:[1,0,1]
	v_mov_b32_e32 v63, v27
	v_pk_mul_f32 v[58:59], v[56:57], s[12:13] op_sel_hi:[1,0]
	v_pk_fma_f32 v[62:63], v[30:31], s[14:15], v[62:63] op_sel_hi:[1,0,1]
	v_pk_fma_f32 v[60:61], v[56:57], s[16:17], v[58:59] op_sel:[0,0,1] op_sel_hi:[1,0,0]
	v_pk_fma_f32 v[56:57], v[56:57], s[16:17], v[58:59] op_sel:[0,0,1] op_sel_hi:[1,0,0] neg_lo:[0,0,1] neg_hi:[0,0,1]
	v_pk_add_f32 v[58:59], v[54:55], v[28:29]
	v_mov_b32_e32 v61, v57
	v_pk_add_f32 v[56:57], v[16:17], v[24:25]
	v_pk_add_f32 v[58:59], v[58:59], v[36:37]
	;; [unrolled: 1-line block ×9, first 2 shown]
	s_barrier
	ds_write2_b64 v140, v[64:65], v[66:67] offset1:5
	v_pk_add_f32 v[64:65], v[24:25], v[48:49]
	v_pk_add_f32 v[24:25], v[32:33], v[24:25] neg_lo:[0,1] neg_hi:[0,1]
	v_pk_add_f32 v[32:33], v[40:41], v[48:49] neg_lo:[0,1] neg_hi:[0,1]
	v_pk_fma_f32 v[16:17], v[64:65], 0.5, v[16:17] op_sel_hi:[1,0,1] neg_lo:[1,0,0] neg_hi:[1,0,0]
	v_pk_add_f32 v[24:25], v[24:25], v[32:33]
	v_pk_add_f32 v[32:33], v[28:29], v[52:53]
	v_pk_add_f32 v[28:29], v[36:37], v[28:29] neg_lo:[0,1] neg_hi:[0,1]
	v_pk_add_f32 v[36:37], v[44:45], v[52:53] neg_lo:[0,1] neg_hi:[0,1]
	v_pk_mul_f32 v[22:23], v[22:23], s[2:3] op_sel_hi:[1,0]
	v_pk_fma_f32 v[32:33], v[32:33], 0.5, v[54:55] op_sel_hi:[1,0,1] neg_lo:[1,0,0] neg_hi:[1,0,0]
	v_pk_add_f32 v[28:29], v[28:29], v[36:37]
	v_pk_add_f32 v[36:37], v[16:17], v[22:23] op_sel:[0,1] op_sel_hi:[1,0] neg_lo:[0,1] neg_hi:[0,1]
	v_pk_add_f32 v[16:17], v[16:17], v[22:23] op_sel:[0,1] op_sel_hi:[1,0]
	v_pk_mul_f32 v[20:21], v[20:21], s[12:13] op_sel_hi:[1,0]
	v_pk_mul_f32 v[22:23], v[46:47], s[2:3] op_sel_hi:[1,0]
	v_pk_add_f32 v[16:17], v[16:17], v[20:21] op_sel:[0,1] op_sel_hi:[1,0] neg_lo:[0,1] neg_hi:[0,1]
	v_pk_add_f32 v[20:21], v[36:37], v[20:21] op_sel:[0,1] op_sel_hi:[1,0]
	v_pk_add_f32 v[36:37], v[32:33], v[22:23] op_sel:[0,1] op_sel_hi:[1,0] neg_lo:[0,1] neg_hi:[0,1]
	v_pk_add_f32 v[22:23], v[32:33], v[22:23] op_sel:[0,1] op_sel_hi:[1,0]
	v_pk_mul_f32 v[32:33], v[42:43], s[12:13] op_sel_hi:[1,0]
	v_mov_b32_e32 v39, v51
	v_pk_add_f32 v[22:23], v[22:23], v[32:33] op_sel:[0,1] op_sel_hi:[1,0] neg_lo:[0,1] neg_hi:[0,1]
	v_pk_add_f32 v[32:33], v[36:37], v[32:33] op_sel:[0,1] op_sel_hi:[1,0]
	v_mov_b32_e32 v37, v23
	v_mov_b32_e32 v36, v32
	v_pk_fma_f32 v[36:37], v[28:29], s[14:15], v[36:37] op_sel_hi:[1,0,1]
	v_mov_b32_e32 v23, v33
	v_pk_mul_f32 v[40:41], v[36:37], s[2:3] op_sel_hi:[1,0]
	v_pk_fma_f32 v[22:23], v[28:29], s[14:15], v[22:23] op_sel_hi:[1,0,1]
	v_pk_fma_f32 v[42:43], v[36:37], s[14:15], v[40:41] op_sel:[0,0,1] op_sel_hi:[1,0,0]
	v_pk_fma_f32 v[36:37], v[36:37], s[14:15], v[40:41] op_sel:[0,0,1] op_sel_hi:[1,0,0] neg_lo:[0,0,1] neg_hi:[0,0,1]
	v_mov_b32_e32 v27, v19
	v_mov_b32_e32 v43, v37
	;; [unrolled: 1-line block ×5, first 2 shown]
	v_pk_fma_f32 v[20:21], v[24:25], s[14:15], v[36:37] op_sel_hi:[1,0,1]
	v_pk_fma_f32 v[16:17], v[24:25], s[14:15], v[16:17] op_sel_hi:[1,0,1]
	v_pk_mul_f32 v[24:25], v[22:23], s[14:15] op_sel_hi:[1,0]
	s_mov_b32 s2, 0xbf167918
	v_pk_fma_f32 v[22:23], v[22:23], s[18:19], v[24:25] op_sel:[0,0,1] op_sel_hi:[1,1,0] neg_lo:[0,0,1] neg_hi:[0,0,1]
	v_pk_add_f32 v[24:25], v[20:21], v[42:43]
	v_pk_add_f32 v[28:29], v[16:17], v[22:23] op_sel:[0,1] op_sel_hi:[1,0]
	ds_write2_b64 v140, v[24:25], v[28:29] offset0:10 offset1:15
	v_pk_fma_f32 v[24:25], v[34:35], s[14:15], v[38:39] op_sel_hi:[1,0,1]
	s_mov_b32 s3, s12
	v_pk_fma_f32 v[18:19], v[30:31], s[14:15], v[26:27] op_sel_hi:[1,0,1]
	v_pk_mul_f32 v[26:27], v[24:25], s[2:3]
	v_pk_add_f32 v[20:21], v[20:21], v[42:43] neg_lo:[0,1] neg_hi:[0,1]
	v_pk_fma_f32 v[24:25], v[24:25], s[16:17], v[26:27] op_sel:[0,0,1] op_sel_hi:[1,0,0] neg_lo:[1,0,0] neg_hi:[1,0,0]
	v_pk_add_f32 v[26:27], v[56:57], v[58:59] neg_lo:[0,1] neg_hi:[0,1]
	v_pk_add_f32 v[28:29], v[18:19], v[24:25]
	ds_write2_b64 v140, v[28:29], v[26:27] offset0:20 offset1:25
	v_pk_add_f32 v[26:27], v[62:63], v[60:61] neg_lo:[0,1] neg_hi:[0,1]
	v_pk_add_f32 v[50:51], v[18:19], v[24:25] neg_lo:[0,1] neg_hi:[0,1]
	v_pk_add_f32 v[16:17], v[16:17], v[22:23] op_sel:[0,1] op_sel_hi:[1,0] neg_lo:[0,1] neg_hi:[0,1]
	ds_write2_b64 v140, v[26:27], v[20:21] offset0:30 offset1:35
	ds_write2_b64 v140, v[16:17], v[50:51] offset0:40 offset1:45
	s_waitcnt lgkmcnt(0)
	s_barrier
	v_add_u32_e32 v0, 0x1c00, v80
	ds_read_b64 v[48:49], v80 offset:9360
	ds_read2_b64 v[32:35], v68 offset0:14 offset1:194
	ds_read2_b64 v[44:47], v0 offset0:4 offset1:139
	;; [unrolled: 1-line block ×3, first 2 shown]
	ds_read2_b64 v[40:43], v80 offset1:135
	s_load_dwordx2 s[12:13], s[0:1], 0x38
	v_cmp_lt_u16_e64 s[0:1], 44, v82
                                        ; implicit-def: $vgpr52
                                        ; implicit-def: $vgpr0
                                        ; implicit-def: $vgpr54
                                        ; implicit-def: $vgpr4
	s_and_saveexec_b64 s[2:3], vcc
	s_cbranch_execz .LBB0_3
; %bb.2:
	ds_read_b64 v[52:53], v80 offset:6840
	ds_read_b64 v[54:55], v80 offset:10440
	;; [unrolled: 1-line block ×3, first 2 shown]
	s_waitcnt lgkmcnt(0)
	v_mov_b32_e32 v0, v53
	v_mov_b32_e32 v4, v55
.LBB0_3:
	s_or_b64 exec, exec, s[2:3]
	v_mov_b32_e32 v3, 41
	v_mul_lo_u16_sdwa v3, v82, v3 dst_sel:DWORD dst_unused:UNUSED_PAD src0_sel:BYTE_0 src1_sel:DWORD
	v_lshrrev_b16_e32 v7, 1, v124
	v_lshrrev_b16_e32 v8, 11, v3
	v_mul_u32_u24_e32 v7, 0x147b, v7
	v_mul_lo_u16_e32 v3, 50, v8
	v_lshrrev_b32_e32 v12, 17, v7
	v_sub_u16_e32 v3, v82, v3
	v_mul_lo_u16_e32 v7, 50, v12
	s_mov_b64 s[2:3], 0x10e
	v_and_b32_e32 v11, 0xff, v3
	v_sub_u16_e32 v15, v124, v7
	v_lshl_add_u64 v[126:127], v[82:83], 0, s[2:3]
	v_lshlrev_b32_e32 v3, 4, v11
	v_lshlrev_b16_e32 v24, 4, v15
	v_mov_b32_e32 v25, 0
	v_lshl_add_u64 v[26:27], s[10:11], 0, v[24:25]
	global_load_dwordx4 v[20:23], v3, s[10:11] offset:360
	global_load_dwordx4 v[16:19], v[26:27], off offset:360
	v_lshrrev_b16_e32 v3, 1, v126
	v_mul_u32_u24_e32 v7, 0x147b, v3
	v_lshrrev_b32_e32 v70, 17, v7
	s_mov_b64 s[2:3], 0x195
	v_mul_lo_u16_e32 v7, 50, v70
	v_lshl_add_u64 v[128:129], v[82:83], 0, s[2:3]
	v_sub_u16_e32 v71, v126, v7
	v_lshlrev_b16_e32 v24, 4, v71
	v_lshrrev_b16_e32 v7, 1, v128
	v_lshl_add_u64 v[56:57], s[10:11], 0, v[24:25]
	v_mul_u32_u24_e32 v24, 0x147b, v7
	v_lshrrev_b32_e32 v24, 17, v24
	v_mul_lo_u16_e32 v24, 50, v24
	v_sub_u16_e32 v72, v128, v24
	v_lshlrev_b16_e32 v24, 4, v72
	v_lshl_add_u64 v[58:59], s[10:11], 0, v[24:25]
	global_load_dwordx4 v[24:27], v[58:59], off offset:360
	global_load_dwordx4 v[28:31], v[56:57], off offset:360
	s_movk_i32 s3, 0x96
	v_mul_u32_u24_e32 v8, 0x96, v8
	v_mad_legacy_u16 v12, v12, s3, v15
	v_add_lshl_u32 v142, v8, v11, 3
	v_lshlrev_b32_e32 v141, 3, v12
	s_mov_b32 s2, 0x3f5db3d7
	s_waitcnt lgkmcnt(0)
	s_barrier
	v_lshlrev_b32_e32 v144, 3, v72
	s_waitcnt vmcnt(3)
	v_pk_mul_f32 v[56:57], v[34:35], v[20:21] op_sel:[0,1]
	v_mov_b32_e32 v8, v23
	s_waitcnt vmcnt(2)
	v_pk_mul_f32 v[58:59], v[36:37], v[16:17] op_sel:[0,1]
	v_mov_b32_e32 v12, v19
	v_pk_fma_f32 v[60:61], v[34:35], v[20:21], v[56:57] op_sel:[0,0,1] op_sel_hi:[1,1,0] neg_lo:[0,0,1] neg_hi:[0,0,1]
	v_pk_fma_f32 v[34:35], v[34:35], v[20:21], v[56:57] op_sel:[0,0,1] op_sel_hi:[1,0,0]
	v_pk_mul_f32 v[56:57], v[44:45], v[8:9] op_sel_hi:[1,0]
	v_pk_fma_f32 v[62:63], v[36:37], v[16:17], v[58:59] op_sel:[0,0,1] op_sel_hi:[1,1,0] neg_lo:[0,0,1] neg_hi:[0,0,1]
	v_pk_fma_f32 v[36:37], v[36:37], v[16:17], v[58:59] op_sel:[0,0,1] op_sel_hi:[1,0,0]
	v_pk_mul_f32 v[58:59], v[46:47], v[12:13] op_sel_hi:[1,0]
	v_mov_b32_e32 v61, v35
	v_pk_fma_f32 v[34:35], v[44:45], v[22:23], v[56:57] op_sel:[0,0,1] op_sel_hi:[1,1,0] neg_lo:[0,0,1] neg_hi:[0,0,1]
	v_pk_fma_f32 v[44:45], v[44:45], v[22:23], v[56:57] op_sel:[0,0,1] op_sel_hi:[1,0,0]
	v_mov_b32_e32 v63, v37
	v_pk_fma_f32 v[36:37], v[46:47], v[18:19], v[58:59] op_sel:[0,0,1] op_sel_hi:[1,1,0] neg_lo:[0,0,1] neg_hi:[0,0,1]
	v_pk_fma_f32 v[46:47], v[46:47], v[18:19], v[58:59] op_sel:[0,0,1] op_sel_hi:[1,0,0]
	v_mov_b32_e32 v35, v45
	s_waitcnt vmcnt(1)
	v_pk_mul_f32 v[56:57], v[0:1], v[24:25] op_sel_hi:[0,1]
	v_pk_mul_f32 v[58:59], v[4:5], v[26:27] op_sel_hi:[0,1]
	v_pk_add_f32 v[44:45], v[40:41], v[60:61]
	v_mov_b32_e32 v37, v47
	v_pk_fma_f32 v[46:47], v[52:53], v[24:25], v[56:57] op_sel:[0,0,1] op_sel_hi:[1,1,0] neg_lo:[0,0,1] neg_hi:[0,0,1]
	v_pk_fma_f32 v[52:53], v[52:53], v[24:25], v[56:57] op_sel:[0,0,1] op_sel_hi:[0,1,0]
	v_pk_fma_f32 v[56:57], v[54:55], v[26:27], v[58:59] op_sel:[0,0,1] op_sel_hi:[1,1,0] neg_lo:[0,0,1] neg_hi:[0,0,1]
	v_pk_fma_f32 v[54:55], v[54:55], v[26:27], v[58:59] op_sel:[0,0,1] op_sel_hi:[0,1,0]
	v_pk_add_f32 v[44:45], v[44:45], v[34:35]
	v_pk_add_f32 v[58:59], v[60:61], v[34:35]
	v_pk_add_f32 v[34:35], v[60:61], v[34:35] neg_lo:[0,1] neg_hi:[0,1]
	v_mov_b32_e32 v47, v53
	v_mov_b32_e32 v57, v55
	v_pk_fma_f32 v[40:41], v[58:59], 0.5, v[40:41] op_sel_hi:[1,0,1] neg_lo:[1,0,0] neg_hi:[1,0,0]
	v_pk_mul_f32 v[34:35], v[34:35], s[2:3] op_sel_hi:[1,0]
	v_pk_add_f32 v[52:53], v[50:51], v[46:47]
	v_pk_add_f32 v[54:55], v[46:47], v[56:57]
	v_pk_add_f32 v[46:47], v[46:47], v[56:57] neg_lo:[0,1] neg_hi:[0,1]
	v_pk_add_f32 v[58:59], v[40:41], v[34:35] op_sel:[0,1] op_sel_hi:[1,0]
	v_pk_add_f32 v[34:35], v[40:41], v[34:35] op_sel:[0,1] op_sel_hi:[1,0] neg_lo:[0,1] neg_hi:[0,1]
	v_pk_fma_f32 v[40:41], v[54:55], 0.5, v[50:51] op_sel_hi:[1,0,1] neg_lo:[1,0,0] neg_hi:[1,0,0]
	v_pk_mul_f32 v[46:47], v[46:47], s[2:3] op_sel_hi:[1,0]
	v_pk_add_f32 v[60:61], v[62:63], v[36:37]
	v_mov_b32_e32 v50, v58
	v_mov_b32_e32 v51, v35
	;; [unrolled: 1-line block ×3, first 2 shown]
	v_pk_add_f32 v[66:67], v[40:41], v[46:47] op_sel:[0,1] op_sel_hi:[1,0] neg_lo:[0,1] neg_hi:[0,1]
	v_pk_add_f32 v[68:69], v[46:47], v[40:41] op_sel:[1,0] op_sel_hi:[0,1]
	v_pk_add_f32 v[40:41], v[62:63], v[36:37] neg_lo:[0,1] neg_hi:[0,1]
	ds_write2_b64 v142, v[44:45], v[50:51] offset1:50
	ds_write_b64 v142, v[34:35] offset:800
	v_pk_fma_f32 v[34:35], v[60:61], 0.5, v[42:43] op_sel_hi:[1,0,1] neg_lo:[1,0,0] neg_hi:[1,0,0]
	v_pk_mul_f32 v[40:41], v[40:41], s[2:3] op_sel_hi:[1,0]
	v_mad_legacy_u16 v0, v70, s3, v71
	v_pk_add_f32 v[44:45], v[34:35], v[40:41] op_sel:[0,1] op_sel_hi:[1,0] neg_lo:[0,1] neg_hi:[0,1]
	v_pk_add_f32 v[34:35], v[34:35], v[40:41] op_sel:[0,1] op_sel_hi:[1,0]
	v_pk_add_f32 v[40:41], v[42:43], v[62:63]
	v_lshlrev_b32_e32 v143, 3, v0
	v_pk_add_f32 v[36:37], v[40:41], v[36:37]
	v_mov_b32_e32 v40, v34
	v_mov_b32_e32 v41, v45
	;; [unrolled: 1-line block ×3, first 2 shown]
	s_waitcnt vmcnt(0)
	v_pk_mul_f32 v[34:35], v[38:39], v[28:29] op_sel:[0,1]
	ds_write2_b64 v141, v[36:37], v[40:41] offset1:50
	v_pk_fma_f32 v[36:37], v[38:39], v[28:29], v[34:35] op_sel:[0,0,1] op_sel_hi:[1,1,0] neg_lo:[0,0,1] neg_hi:[0,0,1]
	v_pk_fma_f32 v[34:35], v[38:39], v[28:29], v[34:35] op_sel:[0,0,1] op_sel_hi:[1,0,0]
	v_mov_b32_e32 v0, v31
	v_mov_b32_e32 v37, v35
	v_pk_mul_f32 v[34:35], v[48:49], v[0:1] op_sel_hi:[1,0]
	v_pk_add_f32 v[64:65], v[52:53], v[56:57]
	v_pk_fma_f32 v[38:39], v[48:49], v[30:31], v[34:35] op_sel:[0,0,1] op_sel_hi:[1,1,0] neg_lo:[0,0,1] neg_hi:[0,0,1]
	v_pk_fma_f32 v[34:35], v[48:49], v[30:31], v[34:35] op_sel:[0,0,1] op_sel_hi:[1,0,0]
	ds_write_b64 v141, v[44:45] offset:800
	v_mov_b32_e32 v39, v35
	v_pk_add_f32 v[34:35], v[36:37], v[38:39]
	v_pk_add_f32 v[40:41], v[36:37], v[38:39] neg_lo:[0,1] neg_hi:[0,1]
	v_pk_fma_f32 v[34:35], v[34:35], 0.5, v[32:33] op_sel_hi:[1,0,1] neg_lo:[1,0,0] neg_hi:[1,0,0]
	v_pk_mul_f32 v[40:41], v[40:41], s[2:3] op_sel_hi:[1,0]
	v_pk_add_f32 v[32:33], v[32:33], v[36:37]
	v_pk_add_f32 v[42:43], v[34:35], v[40:41] op_sel:[0,1] op_sel_hi:[1,0] neg_lo:[0,1] neg_hi:[0,1]
	v_pk_add_f32 v[34:35], v[34:35], v[40:41] op_sel:[0,1] op_sel_hi:[1,0]
	v_pk_add_f32 v[32:33], v[32:33], v[38:39]
	v_mov_b32_e32 v36, v34
	v_mov_b32_e32 v37, v43
	;; [unrolled: 1-line block ×3, first 2 shown]
	ds_write2_b64 v143, v[32:33], v[36:37] offset1:50
	ds_write_b64 v143, v[42:43] offset:800
	s_and_saveexec_b64 s[2:3], vcc
	s_cbranch_execz .LBB0_5
; %bb.4:
	v_mov_b32_e32 v32, v68
	v_mov_b32_e32 v33, v67
	v_add_u32_e32 v0, 0x2000, v144
	ds_write2_b64 v0, v[64:65], v[32:33] offset0:176 offset1:226
	v_mov_b32_e32 v32, v66
	v_mov_b32_e32 v33, v69
	ds_write_b64 v144, v[32:33] offset:10400
.LBB0_5:
	s_or_b64 exec, exec, s[2:3]
	v_add_u32_e32 v0, 0x800, v80
	s_waitcnt lgkmcnt(0)
	s_barrier
	ds_read2_b64 v[48:51], v0 offset0:14 offset1:194
	v_add_u32_e32 v0, 0x1c00, v80
	ds_read2_b64 v[60:63], v0 offset0:4 offset1:139
	v_add_u32_e32 v0, 0x1000, v80
	ds_read2_b64 v[56:59], v80 offset1:135
	ds_read2_b64 v[52:55], v0 offset0:73 offset1:208
	ds_read_b64 v[70:71], v80 offset:9360
	s_and_saveexec_b64 s[2:3], s[0:1]
	s_xor_b64 s[2:3], exec, s[2:3]
	s_andn2_saveexec_b64 s[2:3], s[2:3]
	s_cbranch_execz .LBB0_7
; %bb.6:
	ds_read_b64 v[32:33], v80 offset:6840
	ds_read_b64 v[66:67], v80 offset:10440
	;; [unrolled: 1-line block ×3, first 2 shown]
	s_waitcnt lgkmcnt(2)
	v_mov_b32_e32 v68, v32
	s_waitcnt lgkmcnt(1)
	v_mov_b32_e32 v69, v67
	v_mov_b32_e32 v67, v33
.LBB0_7:
	s_or_b64 exec, exec, s[2:3]
	v_lshlrev_b32_e32 v136, 4, v82
	v_lshl_add_u64 v[36:37], v[82:83], 0, -15
	v_cmp_gt_u16_e64 s[2:3], 15, v82
	v_mul_u32_u24_e32 v0, 0xda75, v7
	global_load_dwordx4 v[32:35], v136, s[10:11] offset:1160
	v_cndmask_b32_e64 v73, v37, v125, s[2:3]
	v_cndmask_b32_e64 v72, v36, v124, s[2:3]
	v_lshrrev_b32_e32 v0, 22, v0
	v_lshl_add_u64 v[36:37], v[72:73], 4, s[10:11]
	global_load_dwordx4 v[36:39], v[36:37], off offset:1160
	v_mul_lo_u16_e32 v0, 0x96, v0
	v_mov_b32_e32 v137, 0
	v_sub_u16_e32 v4, v128, v0
	v_mov_b32_e32 v41, v137
	v_lshlrev_b16_e32 v40, 4, v4
	v_mul_u32_u24_e32 v0, 0xda75, v3
	v_lshl_add_u64 v[40:41], s[10:11], 0, v[40:41]
	v_lshrrev_b32_e32 v3, 22, v0
	global_load_dwordx4 v[40:43], v[40:41], off offset:1160
	v_mul_lo_u16_e32 v0, 0x96, v3
	v_sub_u16_e32 v7, v126, v0
	v_mov_b32_e32 v45, v137
	v_lshlrev_b16_e32 v44, 4, v7
	v_lshl_add_u64 v[44:45], s[10:11], 0, v[44:45]
	global_load_dwordx4 v[44:47], v[44:45], off offset:1160
	v_mov_b32_e32 v0, 0x1c2
	v_cmp_lt_u16_e64 s[2:3], 14, v82
	s_mov_b32 s14, 0x3f5db3d7
	s_movk_i32 s15, 0x1c2
	v_cndmask_b32_e64 v0, 0, v0, s[2:3]
	v_add_lshl_u32 v145, v72, v0, 3
	s_waitcnt lgkmcnt(0)
	s_barrier
	v_lshlrev_b32_e32 v147, 3, v4
	s_waitcnt vmcnt(3)
	v_pk_mul_f32 v[72:73], v[50:51], v[32:33] op_sel:[0,1]
	v_mov_b32_e32 v0, v35
	v_pk_fma_f32 v[74:75], v[50:51], v[32:33], v[72:73] op_sel:[0,0,1] op_sel_hi:[1,1,0] neg_lo:[0,0,1] neg_hi:[0,0,1]
	v_pk_fma_f32 v[50:51], v[50:51], v[32:33], v[72:73] op_sel:[0,0,1] op_sel_hi:[1,0,0]
	v_pk_mul_f32 v[72:73], v[60:61], v[0:1] op_sel_hi:[1,0]
	v_mov_b32_e32 v75, v51
	v_pk_fma_f32 v[50:51], v[60:61], v[34:35], v[72:73] op_sel:[0,0,1] op_sel_hi:[1,1,0] neg_lo:[0,0,1] neg_hi:[0,0,1]
	v_pk_fma_f32 v[60:61], v[60:61], v[34:35], v[72:73] op_sel:[0,0,1] op_sel_hi:[1,0,0]
	s_waitcnt vmcnt(2)
	v_pk_mul_f32 v[72:73], v[52:53], v[36:37] op_sel:[0,1]
	v_mov_b32_e32 v0, v39
	v_mov_b32_e32 v51, v61
	v_pk_add_f32 v[60:61], v[56:57], v[74:75]
	v_pk_fma_f32 v[76:77], v[52:53], v[36:37], v[72:73] op_sel:[0,0,1] op_sel_hi:[1,1,0] neg_lo:[0,0,1] neg_hi:[0,0,1]
	v_pk_fma_f32 v[52:53], v[52:53], v[36:37], v[72:73] op_sel:[0,0,1] op_sel_hi:[1,0,0]
	v_pk_mul_f32 v[72:73], v[62:63], v[0:1] op_sel_hi:[1,0]
	v_pk_add_f32 v[78:79], v[74:75], v[50:51]
	v_pk_add_f32 v[74:75], v[74:75], v[50:51] neg_lo:[0,1] neg_hi:[0,1]
	v_pk_add_f32 v[50:51], v[60:61], v[50:51]
	v_mov_b32_e32 v77, v53
	v_pk_fma_f32 v[52:53], v[62:63], v[38:39], v[72:73] op_sel:[0,0,1] op_sel_hi:[1,1,0] neg_lo:[0,0,1] neg_hi:[0,0,1]
	v_pk_fma_f32 v[60:61], v[62:63], v[38:39], v[72:73] op_sel:[0,0,1] op_sel_hi:[1,0,0]
	s_waitcnt vmcnt(1)
	v_pk_mul_f32 v[62:63], v[66:67], v[40:41] op_sel:[1,0]
	v_pk_mul_f32 v[72:73], v[68:69], v[42:43] op_sel:[1,0]
	v_pk_fma_f32 v[56:57], v[78:79], 0.5, v[56:57] op_sel_hi:[1,0,1] neg_lo:[1,0,0] neg_hi:[1,0,0]
	v_pk_mul_f32 v[74:75], v[74:75], s[14:15] op_sel_hi:[1,0]
	v_mov_b32_e32 v53, v61
	v_pk_add_f32 v[60:61], v[58:59], v[76:77]
	v_pk_fma_f32 v[78:79], v[68:69], v[40:41], v[62:63] op_sel:[0,0,1] op_sel_hi:[1,1,0] neg_lo:[0,0,1] neg_hi:[0,0,1]
	v_pk_fma_f32 v[62:63], v[68:69], v[40:41], v[62:63] op_sel:[0,0,1] op_sel_hi:[0,1,0]
	v_pk_fma_f32 v[68:69], v[66:67], v[42:43], v[72:73] op_sel:[0,0,1] op_sel_hi:[1,1,0] neg_lo:[0,0,1] neg_hi:[0,0,1]
	v_pk_fma_f32 v[66:67], v[66:67], v[42:43], v[72:73] op_sel:[0,0,1] op_sel_hi:[0,1,0]
	v_pk_add_f32 v[72:73], v[56:57], v[74:75] op_sel:[0,1] op_sel_hi:[1,0] neg_lo:[0,1] neg_hi:[0,1]
	v_pk_add_f32 v[56:57], v[56:57], v[74:75] op_sel:[0,1] op_sel_hi:[1,0]
	v_pk_add_f32 v[60:61], v[60:61], v[52:53]
	v_pk_add_f32 v[74:75], v[76:77], v[52:53]
	v_pk_add_f32 v[52:53], v[76:77], v[52:53] neg_lo:[0,1] neg_hi:[0,1]
	v_mov_b32_e32 v79, v63
	v_mov_b32_e32 v62, v56
	;; [unrolled: 1-line block ×4, first 2 shown]
	v_pk_fma_f32 v[56:57], v[74:75], 0.5, v[58:59] op_sel_hi:[1,0,1] neg_lo:[1,0,0] neg_hi:[1,0,0]
	v_pk_mul_f32 v[52:53], v[52:53], s[14:15] op_sel_hi:[1,0]
	ds_write2_b64 v80, v[50:51], v[62:63] offset1:150
	ds_write_b64 v80, v[72:73] offset:2400
	v_pk_add_f32 v[50:51], v[56:57], v[52:53] op_sel:[0,1] op_sel_hi:[1,0]
	v_pk_add_f32 v[52:53], v[56:57], v[52:53] op_sel:[0,1] op_sel_hi:[1,0] neg_lo:[0,1] neg_hi:[0,1]
	v_mov_b32_e32 v62, v50
	v_mov_b32_e32 v63, v53
	;; [unrolled: 1-line block ×3, first 2 shown]
	v_mad_legacy_u16 v0, v3, s15, v7
	s_waitcnt vmcnt(0)
	v_pk_mul_f32 v[50:51], v[54:55], v[44:45] op_sel:[0,1]
	ds_write_b64 v145, v[52:53] offset:2400
	v_lshlrev_b32_e32 v146, 3, v0
	v_pk_fma_f32 v[52:53], v[54:55], v[44:45], v[50:51] op_sel:[0,0,1] op_sel_hi:[1,1,0] neg_lo:[0,0,1] neg_hi:[0,0,1]
	v_pk_fma_f32 v[50:51], v[54:55], v[44:45], v[50:51] op_sel:[0,0,1] op_sel_hi:[1,0,0]
	v_mov_b32_e32 v0, v47
	v_mov_b32_e32 v69, v67
	;; [unrolled: 1-line block ×3, first 2 shown]
	v_pk_mul_f32 v[50:51], v[70:71], v[0:1] op_sel_hi:[1,0]
	v_pk_add_f32 v[58:59], v[64:65], v[78:79]
	v_pk_add_f32 v[66:67], v[78:79], v[68:69]
	v_pk_add_f32 v[74:75], v[78:79], v[68:69] neg_lo:[0,1] neg_hi:[0,1]
	v_pk_fma_f32 v[54:55], v[70:71], v[46:47], v[50:51] op_sel:[0,0,1] op_sel_hi:[1,1,0] neg_lo:[0,0,1] neg_hi:[0,0,1]
	v_pk_fma_f32 v[50:51], v[70:71], v[46:47], v[50:51] op_sel:[0,0,1] op_sel_hi:[1,0,0]
	v_pk_add_f32 v[130:131], v[58:59], v[68:69]
	v_pk_fma_f32 v[56:57], v[66:67], 0.5, v[64:65] op_sel_hi:[1,0,1] neg_lo:[1,0,0] neg_hi:[1,0,0]
	v_pk_mul_f32 v[58:59], v[74:75], s[14:15] op_sel_hi:[1,0]
	v_mov_b32_e32 v55, v51
	v_pk_add_f32 v[132:133], v[56:57], v[58:59] op_sel:[0,1] op_sel_hi:[1,0] neg_lo:[0,1] neg_hi:[0,1]
	v_pk_add_f32 v[134:135], v[58:59], v[56:57] op_sel:[1,0] op_sel_hi:[0,1]
	v_pk_add_f32 v[50:51], v[52:53], v[54:55]
	v_pk_add_f32 v[56:57], v[52:53], v[54:55] neg_lo:[0,1] neg_hi:[0,1]
	v_pk_fma_f32 v[50:51], v[50:51], 0.5, v[48:49] op_sel_hi:[1,0,1] neg_lo:[1,0,0] neg_hi:[1,0,0]
	v_pk_mul_f32 v[56:57], v[56:57], s[14:15] op_sel_hi:[1,0]
	v_pk_add_f32 v[48:49], v[48:49], v[52:53]
	v_pk_add_f32 v[58:59], v[50:51], v[56:57] op_sel:[0,1] op_sel_hi:[1,0] neg_lo:[0,1] neg_hi:[0,1]
	v_pk_add_f32 v[50:51], v[50:51], v[56:57] op_sel:[0,1] op_sel_hi:[1,0]
	v_pk_add_f32 v[48:49], v[48:49], v[54:55]
	v_mov_b32_e32 v52, v50
	v_mov_b32_e32 v53, v59
	;; [unrolled: 1-line block ×3, first 2 shown]
	ds_write2_b64 v145, v[60:61], v[62:63] offset1:150
	ds_write2_b64 v146, v[48:49], v[52:53] offset1:150
	ds_write_b64 v146, v[58:59] offset:2400
	s_and_saveexec_b64 s[2:3], vcc
	s_cbranch_execz .LBB0_9
; %bb.8:
	v_mov_b32_e32 v48, v134
	v_mov_b32_e32 v49, v133
	v_add_u32_e32 v0, 0x1c00, v147
	ds_write2_b64 v0, v[130:131], v[48:49] offset0:4 offset1:154
	v_mov_b32_e32 v48, v132
	v_mov_b32_e32 v49, v135
	ds_write_b64 v147, v[48:49] offset:9600
.LBB0_9:
	s_or_b64 exec, exec, s[2:3]
	v_add_u32_e32 v0, 0x800, v80
	s_waitcnt lgkmcnt(0)
	s_barrier
	ds_read2_b64 v[64:67], v0 offset0:14 offset1:194
	v_add_u32_e32 v0, 0x1c00, v80
	ds_read2_b64 v[76:79], v0 offset0:4 offset1:139
	v_add_u32_e32 v0, 0x1000, v80
	ds_read2_b64 v[72:75], v80 offset1:135
	ds_read2_b64 v[68:71], v0 offset0:73 offset1:208
	ds_read_b64 v[138:139], v80 offset:9360
	s_and_saveexec_b64 s[2:3], s[0:1]
	s_xor_b64 s[2:3], exec, s[2:3]
	s_or_saveexec_b64 s[2:3], s[2:3]
	v_lshl_add_u64 v[48:49], s[10:11], 0, v[136:137]
	s_xor_b64 exec, exec, s[2:3]
	s_cbranch_execz .LBB0_11
; %bb.10:
	ds_read_b64 v[50:51], v80 offset:6840
	ds_read_b64 v[132:133], v80 offset:10440
	;; [unrolled: 1-line block ×3, first 2 shown]
	s_waitcnt lgkmcnt(2)
	v_mov_b32_e32 v134, v50
	s_waitcnt lgkmcnt(1)
	v_mov_b32_e32 v135, v133
	v_mov_b32_e32 v133, v51
.LBB0_11:
	s_or_b64 exec, exec, s[2:3]
	global_load_dwordx4 v[52:55], v[48:49], off offset:3560
	s_movk_i32 s2, 0xffd3
	v_lshlrev_b32_e32 v0, 4, v124
	global_load_dwordx4 v[56:59], v0, s[10:11] offset:3560
	s_mov_b32 s3, -1
	v_lshl_add_u64 v[48:49], v[82:83], 0, s[2:3]
	v_cndmask_b32_e32 v49, v49, v129, vcc
	v_cndmask_b32_e32 v48, v48, v128, vcc
	v_lshl_add_u64 v[48:49], v[48:49], 4, s[10:11]
	global_load_dwordx4 v[48:51], v[48:49], off offset:3560
	v_lshl_add_u64 v[60:61], v[126:127], 4, s[10:11]
	global_load_dwordx4 v[60:63], v[60:61], off offset:3560
	s_mov_b32 s2, 0x3f5db3d7
	v_mov_b32_e32 v123, v122
	v_mov_b32_e32 v4, v5
	;; [unrolled: 1-line block ×19, first 2 shown]
	s_movk_i32 s10, 0x2000
	s_waitcnt vmcnt(3) lgkmcnt(4)
	v_pk_mul_f32 v[126:127], v[66:67], v[52:53] op_sel:[0,1]
	v_mov_b32_e32 v128, v55
	v_pk_fma_f32 v[136:137], v[66:67], v[52:53], v[126:127] op_sel:[0,0,1] op_sel_hi:[1,1,0] neg_lo:[0,0,1] neg_hi:[0,0,1]
	v_pk_fma_f32 v[66:67], v[66:67], v[52:53], v[126:127] op_sel:[0,0,1] op_sel_hi:[1,0,0]
	s_waitcnt lgkmcnt(3)
	v_pk_mul_f32 v[126:127], v[76:77], v[128:129] op_sel_hi:[1,0]
	s_waitcnt vmcnt(2) lgkmcnt(1)
	v_pk_mul_f32 v[128:129], v[68:69], v[56:57] op_sel:[0,1]
	v_mov_b32_e32 v66, v59
	v_mov_b32_e32 v137, v67
	v_pk_fma_f32 v[148:149], v[76:77], v[54:55], v[126:127] op_sel:[0,0,1] op_sel_hi:[1,1,0] neg_lo:[0,0,1] neg_hi:[0,0,1]
	v_pk_fma_f32 v[76:77], v[76:77], v[54:55], v[126:127] op_sel:[0,0,1] op_sel_hi:[1,0,0]
	v_pk_fma_f32 v[126:127], v[68:69], v[56:57], v[128:129] op_sel:[0,0,1] op_sel_hi:[1,1,0] neg_lo:[0,0,1] neg_hi:[0,0,1]
	v_pk_fma_f32 v[68:69], v[68:69], v[56:57], v[128:129] op_sel:[0,0,1] op_sel_hi:[1,0,0]
	v_pk_mul_f32 v[66:67], v[78:79], v[66:67] op_sel_hi:[1,0]
	v_mov_b32_e32 v149, v77
	v_pk_add_f32 v[76:77], v[72:73], v[136:137]
	v_mov_b32_e32 v127, v69
	v_pk_fma_f32 v[68:69], v[78:79], v[58:59], v[66:67] op_sel:[0,0,1] op_sel_hi:[1,1,0] neg_lo:[0,0,1] neg_hi:[0,0,1]
	v_pk_fma_f32 v[66:67], v[78:79], v[58:59], v[66:67] op_sel:[0,0,1] op_sel_hi:[1,0,0]
	s_waitcnt vmcnt(1)
	v_pk_mul_f32 v[78:79], v[134:135], v[48:49] op_sel_hi:[0,1]
	v_pk_mul_f32 v[128:129], v[132:133], v[50:51] op_sel_hi:[0,1]
	v_pk_add_f32 v[150:151], v[76:77], v[148:149]
	v_pk_add_f32 v[76:77], v[136:137], v[148:149]
	v_pk_add_f32 v[136:137], v[136:137], v[148:149] neg_lo:[0,1] neg_hi:[0,1]
	v_mov_b32_e32 v69, v67
	v_pk_add_f32 v[66:67], v[74:75], v[126:127]
	v_pk_fma_f32 v[148:149], v[132:133], v[48:49], v[78:79] op_sel:[1,0,1] op_sel_hi:[1,1,0]
	v_pk_fma_f32 v[78:79], v[132:133], v[48:49], v[78:79] op_sel:[1,0,1] op_sel_hi:[1,1,0] neg_lo:[1,0,0] neg_hi:[1,0,0]
	v_pk_fma_f32 v[132:133], v[134:135], v[50:51], v[128:129] op_sel:[1,0,1] op_sel_hi:[1,1,0]
	v_pk_fma_f32 v[128:129], v[134:135], v[50:51], v[128:129] op_sel:[1,0,1] op_sel_hi:[1,1,0] neg_lo:[1,0,0] neg_hi:[1,0,0]
	v_pk_fma_f32 v[134:135], v[76:77], 0.5, v[72:73] op_sel_hi:[1,0,1] neg_lo:[1,0,0] neg_hi:[1,0,0]
	v_pk_mul_f32 v[136:137], v[136:137], s[2:3] op_sel_hi:[1,0]
	v_pk_add_f32 v[66:67], v[66:67], v[68:69]
	v_pk_add_f32 v[152:153], v[126:127], v[68:69]
	v_pk_add_f32 v[68:69], v[126:127], v[68:69] neg_lo:[0,1] neg_hi:[0,1]
	v_mov_b32_e32 v149, v79
	v_mov_b32_e32 v72, v79
	v_pk_add_f32 v[78:79], v[134:135], v[136:137] op_sel:[0,1] op_sel_hi:[1,0]
	v_pk_add_f32 v[126:127], v[134:135], v[136:137] op_sel:[0,1] op_sel_hi:[1,0] neg_lo:[0,1] neg_hi:[0,1]
	v_pk_fma_f32 v[74:75], v[152:153], 0.5, v[74:75] op_sel_hi:[1,0,1] neg_lo:[1,0,0] neg_hi:[1,0,0]
	v_pk_mul_f32 v[68:69], v[68:69], s[2:3] op_sel_hi:[1,0]
	v_mov_b32_e32 v73, v148
	v_mov_b32_e32 v76, v129
	;; [unrolled: 1-line block ×6, first 2 shown]
	v_pk_add_f32 v[78:79], v[74:75], v[68:69] op_sel:[0,1] op_sel_hi:[1,0]
	v_pk_add_f32 v[74:75], v[74:75], v[68:69] op_sel:[0,1] op_sel_hi:[1,0] neg_lo:[0,1] neg_hi:[0,1]
	v_mov_b32_e32 v133, v129
	v_pk_add_f32 v[128:129], v[72:73], v[76:77]
	ds_write_b64 v80, v[134:135] offset:3600
	ds_write_b64 v80, v[126:127] offset:7200
	ds_write2_b64 v80, v[150:151], v[66:67] offset1:135
	v_mov_b32_e32 v126, v78
	v_mov_b32_e32 v127, v75
	v_mov_b32_e32 v75, v79
	s_waitcnt vmcnt(0)
	v_pk_mul_f32 v[78:79], v[70:71], v[60:61] op_sel:[0,1]
	s_waitcnt lgkmcnt(3)
	v_pk_fma_f32 v[68:69], v[128:129], 0.5, v[130:131] op_sel_hi:[1,0,1] neg_lo:[1,0,0] neg_hi:[1,0,0]
	v_pk_fma_f32 v[128:129], v[70:71], v[60:61], v[78:79] op_sel:[0,0,1] op_sel_hi:[1,1,0] neg_lo:[0,0,1] neg_hi:[0,0,1]
	v_pk_fma_f32 v[70:71], v[70:71], v[60:61], v[78:79] op_sel:[0,0,1] op_sel_hi:[1,0,0]
	v_pk_add_f32 v[132:133], v[148:149], v[132:133] neg_lo:[0,1] neg_hi:[0,1]
	v_mov_b32_e32 v70, v63
	v_mov_b32_e32 v129, v71
	v_pk_mul_f32 v[70:71], v[138:139], v[70:71] op_sel_hi:[1,0]
	v_pk_fma_f32 v[66:67], v[132:133], s[2:3], v[68:69] op_sel_hi:[1,0,1] neg_lo:[1,0,0] neg_hi:[1,0,0]
	v_pk_fma_f32 v[78:79], v[138:139], v[62:63], v[70:71] op_sel:[0,0,1] op_sel_hi:[1,1,0] neg_lo:[0,0,1] neg_hi:[0,0,1]
	v_pk_fma_f32 v[70:71], v[138:139], v[62:63], v[70:71] op_sel:[0,0,1] op_sel_hi:[1,0,0]
	v_pk_fma_f32 v[68:69], v[132:133], s[2:3], v[68:69] op_sel_hi:[1,0,1]
	v_mov_b32_e32 v79, v71
	v_pk_add_f32 v[70:71], v[64:65], v[128:129]
	s_nop 0
	v_pk_add_f32 v[70:71], v[70:71], v[78:79]
	ds_write_b64 v80, v[70:71] offset:2160
	v_pk_add_f32 v[70:71], v[128:129], v[78:79]
	s_nop 0
	v_pk_fma_f32 v[64:65], v[70:71], 0.5, v[64:65] op_sel_hi:[1,0,1] neg_lo:[1,0,0] neg_hi:[1,0,0]
	v_pk_add_f32 v[70:71], v[128:129], v[78:79] neg_lo:[0,1] neg_hi:[0,1]
	s_nop 0
	v_pk_mul_f32 v[70:71], v[70:71], s[2:3] op_sel_hi:[1,0]
	s_nop 0
	v_pk_add_f32 v[78:79], v[64:65], v[70:71] op_sel:[0,1] op_sel_hi:[1,0]
	v_pk_add_f32 v[128:129], v[64:65], v[70:71] op_sel:[0,1] op_sel_hi:[1,0] neg_lo:[0,1] neg_hi:[0,1]
	v_mov_b32_e32 v70, v78
	v_mov_b32_e32 v71, v129
	v_add_u32_e32 v64, 0x1000, v80
	ds_write2_b64 v64, v[126:127], v[70:71] offset0:73 offset1:208
	v_mov_b32_e32 v129, v79
	v_add_u32_e32 v70, 0x2000, v80
	ds_write2_b64 v70, v[74:75], v[128:129] offset0:11 offset1:146
	s_and_saveexec_b64 s[2:3], vcc
	s_cbranch_execz .LBB0_13
; %bb.12:
	v_pk_add_f32 v[72:73], v[130:131], v[72:73]
	s_nop 0
	v_pk_add_f32 v[72:73], v[72:73], v[76:77]
	ds_write_b64 v80, v[72:73] offset:3240
	v_mov_b32_e32 v72, v68
	v_mov_b32_e32 v73, v67
	ds_write_b64 v80, v[72:73] offset:6840
	v_mov_b32_e32 v72, v66
	v_mov_b32_e32 v73, v69
	ds_write_b64 v80, v[72:73] offset:10440
.LBB0_13:
	s_or_b64 exec, exec, s[2:3]
	v_lshlrev_b32_e32 v72, 3, v82
	v_mov_b32_e32 v73, 0
	v_lshl_add_u64 v[138:139], s[8:9], 0, v[72:73]
	s_mov_b64 s[2:3], 0x2a30
	v_lshl_add_u64 v[148:149], v[138:139], 0, s[2:3]
	v_add_co_u32_e64 v76, s[2:3], s10, v138
	s_waitcnt lgkmcnt(0)
	s_nop 0
	v_addc_co_u32_e64 v77, s[2:3], 0, v139, s[2:3]
	s_barrier
	global_load_dwordx2 v[76:77], v[76:77], off offset:2608
	ds_read2_b64 v[72:75], v80 offset1:135
	s_movk_i32 s2, 0x3000
	s_mov_b32 s10, 0x3f167918
	s_mov_b32 s11, 0x3f4f1bbd
	;; [unrolled: 1-line block ×5, first 2 shown]
	s_waitcnt vmcnt(0) lgkmcnt(0)
	v_mul_f32_e32 v65, v73, v77
	v_mul_f32_e32 v79, v72, v77
	v_fma_f32 v78, v72, v76, -v65
	v_fmac_f32_e32 v79, v73, v76
	global_load_dwordx2 v[72:73], v[148:149], off offset:2160
	ds_write_b64 v80, v[78:79]
	v_add_u32_e32 v65, 0x800, v80
	ds_read2_b64 v[76:79], v65 offset0:14 offset1:149
	ds_read2_b64 v[126:129], v64 offset0:28 offset1:163
	;; [unrolled: 1-line block ×3, first 2 shown]
	s_waitcnt vmcnt(0) lgkmcnt(2)
	v_mul_f32_e32 v71, v77, v73
	v_mul_f32_e32 v151, v76, v73
	v_fma_f32 v150, v76, v72, -v71
	v_fmac_f32_e32 v151, v77, v72
	v_add_co_u32_e64 v72, s[2:3], s2, v138
	s_nop 1
	v_addc_co_u32_e64 v73, s[2:3], 0, v139, s[2:3]
	global_load_dwordx2 v[76:77], v[72:73], off offset:2832
	s_movk_i32 s2, 0x4000
	global_load_dwordx2 v[72:73], v[72:73], off offset:3912
	s_waitcnt vmcnt(1) lgkmcnt(1)
	v_mul_f32_e32 v71, v127, v77
	v_mul_f32_e32 v153, v126, v77
	v_fma_f32 v152, v126, v76, -v71
	v_fmac_f32_e32 v153, v127, v76
	v_add_co_u32_e64 v76, s[2:3], s2, v138
	v_add_u32_e32 v71, 0x1800, v80
	s_nop 0
	v_addc_co_u32_e64 v77, s[2:3], 0, v139, s[2:3]
	global_load_dwordx2 v[126:127], v[76:77], off offset:896
	ds_read2_b64 v[130:133], v71 offset0:42 offset1:177
	s_movk_i32 s2, 0x5000
	s_waitcnt vmcnt(0) lgkmcnt(0)
	v_mul_f32_e32 v83, v131, v127
	v_mul_f32_e32 v155, v130, v127
	v_fma_f32 v154, v130, v126, -v83
	v_fmac_f32_e32 v155, v131, v126
	global_load_dwordx2 v[126:127], v[76:77], off offset:3056
	s_waitcnt vmcnt(0)
	v_mul_f32_e32 v83, v135, v127
	v_mul_f32_e32 v131, v134, v127
	v_fma_f32 v130, v134, v126, -v83
	v_fmac_f32_e32 v131, v135, v126
	global_load_dwordx2 v[126:127], v[148:149], off offset:1080
	s_waitcnt vmcnt(0)
	v_mul_f32_e32 v83, v75, v127
	v_mul_f32_e32 v135, v74, v127
	v_fma_f32 v134, v74, v126, -v83
	v_fmac_f32_e32 v135, v75, v126
	v_add_u32_e32 v74, 0x400, v80
	ds_write2_b64 v74, v[134:135], v[150:151] offset0:7 offset1:142
	global_load_dwordx2 v[74:75], v[148:149], off offset:3240
	s_waitcnt vmcnt(0)
	v_mul_f32_e32 v83, v79, v75
	v_mul_f32_e32 v127, v78, v75
	v_fma_f32 v126, v78, v74, -v83
	v_fmac_f32_e32 v127, v79, v74
	v_add_u32_e32 v74, 0xc00, v80
	ds_write2_b64 v74, v[126:127], v[152:153] offset0:21 offset1:156
	v_mul_f32_e32 v74, v129, v73
	v_mul_f32_e32 v75, v128, v73
	v_fma_f32 v74, v128, v72, -v74
	v_fmac_f32_e32 v75, v129, v72
	v_add_u32_e32 v72, 0x1400, v80
	ds_write2_b64 v72, v[74:75], v[154:155] offset0:35 offset1:170
	global_load_dwordx2 v[72:73], v[76:77], off offset:1976
	v_add_u32_e32 v83, 0x1c00, v80
	s_waitcnt vmcnt(0)
	v_mul_f32_e32 v74, v133, v73
	v_mul_f32_e32 v75, v132, v73
	v_fma_f32 v74, v132, v72, -v74
	v_fmac_f32_e32 v75, v133, v72
	v_add_co_u32_e64 v72, s[2:3], s2, v138
	ds_write2_b64 v83, v[74:75], v[130:131] offset0:49 offset1:184
	s_nop 0
	v_addc_co_u32_e64 v73, s[2:3], 0, v139, s[2:3]
	global_load_dwordx2 v[72:73], v[72:73], off offset:40
	s_mov_b32 s2, 0x3f737871
	s_waitcnt vmcnt(0)
	v_mul_f32_e32 v74, v137, v73
	v_mul_f32_e32 v75, v136, v73
	v_fma_f32 v74, v136, v72, -v74
	v_fmac_f32_e32 v75, v137, v72
	ds_write_b64 v80, v[74:75] offset:9720
	s_waitcnt lgkmcnt(0)
	s_barrier
	ds_read2_b64 v[72:75], v80 offset1:135
	ds_read2_b64 v[76:79], v65 offset0:14 offset1:149
	ds_read2_b64 v[126:129], v64 offset0:28 offset1:163
	;; [unrolled: 1-line block ×4, first 2 shown]
	s_waitcnt lgkmcnt(0)
	v_pk_add_f32 v[148:149], v[72:73], v[76:77]
	v_pk_add_f32 v[160:161], v[76:77], v[126:127] neg_lo:[0,1] neg_hi:[0,1]
	v_pk_add_f32 v[150:151], v[126:127], v[130:131]
	v_pk_add_f32 v[152:153], v[76:77], v[134:135] neg_lo:[0,1] neg_hi:[0,1]
	v_pk_fma_f32 v[150:151], v[150:151], 0.5, v[72:73] op_sel_hi:[1,0,1] neg_lo:[1,0,0] neg_hi:[1,0,0]
	v_pk_mul_f32 v[154:155], v[152:153], s[2:3] op_sel_hi:[1,0]
	v_pk_add_f32 v[156:157], v[126:127], v[130:131] neg_lo:[0,1] neg_hi:[0,1]
	v_pk_add_f32 v[162:163], v[134:135], v[130:131] neg_lo:[0,1] neg_hi:[0,1]
	v_pk_mul_f32 v[158:159], v[156:157], s[10:11] op_sel_hi:[1,0]
	v_pk_add_f32 v[160:161], v[160:161], v[162:163]
	v_pk_add_f32 v[162:163], v[150:151], v[154:155] op_sel:[0,1] op_sel_hi:[1,0] neg_lo:[0,1] neg_hi:[0,1]
	v_pk_add_f32 v[150:151], v[150:151], v[154:155] op_sel:[0,1] op_sel_hi:[1,0]
	v_pk_add_f32 v[148:149], v[148:149], v[126:127]
	v_pk_add_f32 v[150:151], v[150:151], v[158:159] op_sel:[0,1] op_sel_hi:[1,0]
	v_pk_add_f32 v[154:155], v[162:163], v[158:159] op_sel:[0,1] op_sel_hi:[1,0] neg_lo:[0,1] neg_hi:[0,1]
	v_pk_add_f32 v[148:149], v[148:149], v[130:131]
	v_mov_b32_e32 v158, v154
	v_mov_b32_e32 v159, v151
	v_pk_add_f32 v[148:149], v[148:149], v[134:135]
	v_pk_fma_f32 v[158:159], v[160:161], s[8:9], v[158:159] op_sel_hi:[1,0,1]
	s_barrier
	ds_write2_b64 v81, v[148:149], v[158:159] offset1:1
	v_pk_add_f32 v[148:149], v[76:77], v[134:135]
	v_pk_add_f32 v[76:77], v[126:127], v[76:77] neg_lo:[0,1] neg_hi:[0,1]
	v_pk_add_f32 v[126:127], v[130:131], v[134:135] neg_lo:[0,1] neg_hi:[0,1]
	v_pk_fma_f32 v[72:73], v[148:149], 0.5, v[72:73] op_sel_hi:[1,0,1] neg_lo:[1,0,0] neg_hi:[1,0,0]
	v_pk_add_f32 v[76:77], v[76:77], v[126:127]
	v_pk_mul_f32 v[126:127], v[156:157], s[2:3] op_sel_hi:[1,0]
	v_pk_mul_f32 v[130:131], v[152:153], s[10:11] op_sel_hi:[1,0]
	v_pk_add_f32 v[134:135], v[72:73], v[126:127] op_sel:[0,1] op_sel_hi:[1,0]
	v_pk_add_f32 v[72:73], v[72:73], v[126:127] op_sel:[0,1] op_sel_hi:[1,0] neg_lo:[0,1] neg_hi:[0,1]
	v_pk_add_f32 v[126:127], v[134:135], v[130:131] op_sel:[0,1] op_sel_hi:[1,0] neg_lo:[0,1] neg_hi:[0,1]
	v_pk_add_f32 v[72:73], v[72:73], v[130:131] op_sel:[0,1] op_sel_hi:[1,0]
	v_mov_b32_e32 v130, v126
	v_mov_b32_e32 v131, v73
	;; [unrolled: 1-line block ×3, first 2 shown]
	v_pk_fma_f32 v[130:131], v[76:77], s[8:9], v[130:131] op_sel_hi:[1,0,1]
	v_pk_fma_f32 v[72:73], v[76:77], s[8:9], v[72:73] op_sel_hi:[1,0,1]
	v_mov_b32_e32 v151, v155
	ds_write2_b64 v81, v[130:131], v[72:73] offset0:2 offset1:3
	v_pk_fma_f32 v[72:73], v[160:161], s[8:9], v[150:151] op_sel_hi:[1,0,1]
	ds_write_b64 v81, v[72:73] offset:32
	v_pk_add_f32 v[72:73], v[128:129], v[132:133]
	v_pk_add_f32 v[76:77], v[78:79], v[136:137] neg_lo:[0,1] neg_hi:[0,1]
	v_pk_fma_f32 v[72:73], v[72:73], 0.5, v[74:75] op_sel_hi:[1,0,1] neg_lo:[1,0,0] neg_hi:[1,0,0]
	v_pk_mul_f32 v[126:127], v[76:77], s[2:3] op_sel_hi:[1,0]
	v_pk_add_f32 v[130:131], v[128:129], v[132:133] neg_lo:[0,1] neg_hi:[0,1]
	v_pk_add_f32 v[148:149], v[78:79], v[128:129] neg_lo:[0,1] neg_hi:[0,1]
	;; [unrolled: 1-line block ×3, first 2 shown]
	v_pk_add_f32 v[138:139], v[74:75], v[78:79]
	v_pk_mul_f32 v[134:135], v[130:131], s[10:11] op_sel_hi:[1,0]
	v_pk_add_f32 v[148:149], v[148:149], v[150:151]
	v_pk_add_f32 v[150:151], v[72:73], v[126:127] op_sel:[0,1] op_sel_hi:[1,0] neg_lo:[0,1] neg_hi:[0,1]
	v_pk_add_f32 v[72:73], v[72:73], v[126:127] op_sel:[0,1] op_sel_hi:[1,0]
	v_pk_add_f32 v[138:139], v[138:139], v[128:129]
	v_pk_add_f32 v[72:73], v[72:73], v[134:135] op_sel:[0,1] op_sel_hi:[1,0]
	v_pk_add_f32 v[126:127], v[150:151], v[134:135] op_sel:[0,1] op_sel_hi:[1,0] neg_lo:[0,1] neg_hi:[0,1]
	v_pk_add_f32 v[138:139], v[138:139], v[132:133]
	v_mov_b32_e32 v134, v126
	v_mov_b32_e32 v135, v73
	v_pk_add_f32 v[138:139], v[138:139], v[136:137]
	v_pk_fma_f32 v[134:135], v[148:149], s[8:9], v[134:135] op_sel_hi:[1,0,1]
	ds_write2_b64 v95, v[138:139], v[134:135] offset1:1
	v_pk_add_f32 v[134:135], v[78:79], v[136:137]
	v_pk_add_f32 v[78:79], v[128:129], v[78:79] neg_lo:[0,1] neg_hi:[0,1]
	v_pk_add_f32 v[128:129], v[132:133], v[136:137] neg_lo:[0,1] neg_hi:[0,1]
	v_pk_fma_f32 v[74:75], v[134:135], 0.5, v[74:75] op_sel_hi:[1,0,1] neg_lo:[1,0,0] neg_hi:[1,0,0]
	v_pk_add_f32 v[78:79], v[78:79], v[128:129]
	v_pk_mul_f32 v[128:129], v[130:131], s[2:3] op_sel_hi:[1,0]
	v_pk_mul_f32 v[76:77], v[76:77], s[10:11] op_sel_hi:[1,0]
	v_pk_add_f32 v[130:131], v[74:75], v[128:129] op_sel:[0,1] op_sel_hi:[1,0]
	v_pk_add_f32 v[74:75], v[74:75], v[128:129] op_sel:[0,1] op_sel_hi:[1,0] neg_lo:[0,1] neg_hi:[0,1]
	v_mov_b32_e32 v73, v127
	v_pk_add_f32 v[74:75], v[74:75], v[76:77] op_sel:[0,1] op_sel_hi:[1,0]
	v_pk_add_f32 v[76:77], v[130:131], v[76:77] op_sel:[0,1] op_sel_hi:[1,0] neg_lo:[0,1] neg_hi:[0,1]
	v_mov_b32_e32 v129, v75
	v_mov_b32_e32 v128, v76
	;; [unrolled: 1-line block ×3, first 2 shown]
	v_pk_fma_f32 v[128:129], v[78:79], s[8:9], v[128:129] op_sel_hi:[1,0,1]
	v_pk_fma_f32 v[74:75], v[78:79], s[8:9], v[74:75] op_sel_hi:[1,0,1]
	;; [unrolled: 1-line block ×3, first 2 shown]
	ds_write2_b64 v95, v[128:129], v[74:75] offset0:2 offset1:3
	ds_write_b64 v95, v[72:73] offset:32
	s_waitcnt lgkmcnt(0)
	s_barrier
	ds_read2_b64 v[72:75], v80 offset1:135
	ds_read2_b64 v[76:79], v65 offset0:14 offset1:149
	ds_read2_b64 v[126:129], v64 offset0:28 offset1:163
	;; [unrolled: 1-line block ×4, first 2 shown]
	s_waitcnt lgkmcnt(4)
	v_pk_mul_f32 v[4:5], v[4:5], v[74:75]
	s_waitcnt lgkmcnt(3)
	v_pk_mul_f32 v[0:1], v[0:1], v[78:79]
	v_pk_fma_f32 v[70:71], v[122:123], v[74:75], v[4:5] op_sel:[0,0,1] op_sel_hi:[1,1,0]
	v_pk_fma_f32 v[4:5], v[122:123], v[74:75], v[4:5] op_sel:[0,0,1] op_sel_hi:[1,1,0] neg_lo:[0,0,1] neg_hi:[0,0,1]
	v_pk_mul_f32 v[74:75], v[120:121], v[76:77]
	s_mov_b32 s9, s10
	v_pk_fma_f32 v[120:121], v[6:7], v[76:77], v[74:75] op_sel:[0,0,1] op_sel_hi:[1,1,0]
	v_pk_fma_f32 v[6:7], v[6:7], v[76:77], v[74:75] op_sel:[0,0,1] op_sel_hi:[1,1,0] neg_lo:[0,0,1] neg_hi:[0,0,1]
	s_waitcnt lgkmcnt(2)
	v_pk_mul_f32 v[74:75], v[118:119], v[126:127]
	v_mov_b32_e32 v121, v7
	v_pk_fma_f32 v[76:77], v[2:3], v[126:127], v[74:75] op_sel:[0,0,1] op_sel_hi:[1,1,0]
	v_pk_fma_f32 v[2:3], v[2:3], v[126:127], v[74:75] op_sel:[0,0,1] op_sel_hi:[1,1,0] neg_lo:[0,0,1] neg_hi:[0,0,1]
	s_waitcnt lgkmcnt(1)
	v_pk_mul_f32 v[74:75], v[114:115], v[130:131]
	v_pk_fma_f32 v[6:7], v[108:109], v[78:79], v[0:1] op_sel:[0,0,1] op_sel_hi:[1,1,0]
	v_pk_fma_f32 v[0:1], v[108:109], v[78:79], v[0:1] op_sel:[0,0,1] op_sel_hi:[1,1,0] neg_lo:[0,0,1] neg_hi:[0,0,1]
	v_pk_fma_f32 v[78:79], v[10:11], v[130:131], v[74:75] op_sel:[0,0,1] op_sel_hi:[1,1,0]
	v_pk_fma_f32 v[10:11], v[10:11], v[130:131], v[74:75] op_sel:[0,0,1] op_sel_hi:[1,1,0] neg_lo:[0,0,1] neg_hi:[0,0,1]
	s_waitcnt lgkmcnt(0)
	v_pk_mul_f32 v[74:75], v[116:117], v[134:135]
	v_mov_b32_e32 v77, v3
	v_pk_fma_f32 v[108:109], v[14:15], v[134:135], v[74:75] op_sel:[0,0,1] op_sel_hi:[1,1,0]
	v_pk_fma_f32 v[14:15], v[14:15], v[134:135], v[74:75] op_sel:[0,0,1] op_sel_hi:[1,1,0] neg_lo:[0,0,1] neg_hi:[0,0,1]
	v_pk_mul_f32 v[2:3], v[8:9], v[128:129]
	v_mov_b32_e32 v79, v11
	v_pk_mul_f32 v[10:11], v[12:13], v[132:133]
	v_mov_b32_e32 v109, v15
	v_pk_mul_f32 v[14:15], v[106:107], v[136:137]
	v_pk_fma_f32 v[8:9], v[112:113], v[128:129], v[2:3] op_sel:[0,0,1] op_sel_hi:[1,1,0]
	v_pk_fma_f32 v[12:13], v[110:111], v[132:133], v[10:11] op_sel:[0,0,1] op_sel_hi:[1,1,0]
	;; [unrolled: 1-line block ×3, first 2 shown]
	v_mov_b32_e32 v116, v6
	v_mov_b32_e32 v117, v74
	;; [unrolled: 1-line block ×4, first 2 shown]
	v_pk_fma_f32 v[2:3], v[112:113], v[128:129], v[2:3] op_sel:[0,0,1] op_sel_hi:[1,1,0] neg_lo:[0,0,1] neg_hi:[0,0,1]
	v_pk_fma_f32 v[10:11], v[110:111], v[132:133], v[10:11] op_sel:[0,0,1] op_sel_hi:[1,1,0] neg_lo:[0,0,1] neg_hi:[0,0,1]
	v_pk_add_f32 v[122:123], v[116:117], v[118:119] neg_lo:[0,1] neg_hi:[0,1]
	v_mov_b32_e32 v9, v3
	v_mov_b32_e32 v13, v11
	v_pk_fma_f32 v[14:15], v[124:125], v[136:137], v[14:15] op_sel:[0,0,1] op_sel_hi:[1,1,0] neg_lo:[0,0,1] neg_hi:[0,0,1]
	v_mov_b32_e32 v0, v123
	v_mov_b32_e32 v7, v1
	;; [unrolled: 1-line block ×3, first 2 shown]
	v_pk_add_f32 v[110:111], v[8:9], v[12:13]
	v_pk_add_f32 v[114:115], v[8:9], v[12:13] neg_lo:[0,1] neg_hi:[0,1]
	v_pk_add_f32 v[122:123], v[122:123], v[0:1]
	v_fma_f32 v2, -0.5, v110, v70
	v_pk_add_f32 v[112:113], v[6:7], v[74:75] neg_lo:[0,1] neg_hi:[0,1]
	v_mov_b32_e32 v123, v115
	v_fmamk_f32 v4, v113, 0xbf737871, v2
	v_pk_mul_f32 v[122:123], v[122:123], s[8:9]
	v_fmac_f32_e32 v2, 0x3f737871, v113
	v_pk_add_f32 v[116:117], v[118:119], v[116:117] neg_lo:[0,1] neg_hi:[0,1]
	v_sub_f32_e32 v0, v4, v123
	v_add_f32_e32 v2, v123, v2
	v_mov_b32_e32 v4, v117
	v_add_f32_e32 v0, v122, v0
	v_add_f32_e32 v2, v122, v2
	v_pk_add_f32 v[122:123], v[6:7], v[74:75]
	v_mov_b32_e32 v10, v70
	v_pk_add_f32 v[116:117], v[116:117], v[4:5]
	v_fmac_f32_e32 v10, -0.5, v122
	v_mov_b32_e32 v117, v113
	v_fmamk_f32 v14, v115, 0x3f737871, v10
	v_pk_mul_f32 v[116:117], v[116:117], s[8:9]
	v_fmac_f32_e32 v10, 0xbf737871, v115
	v_mov_b32_e32 v71, v5
	v_add_f32_e32 v10, v117, v10
	v_sub_f32_e32 v4, v14, v117
	v_add_f32_e32 v110, v116, v10
	v_pk_add_f32 v[6:7], v[70:71], v[6:7]
	v_mov_b32_e32 v14, v1
	v_mov_b32_e32 v10, v3
	v_pk_add_f32 v[6:7], v[6:7], v[8:9]
	v_pk_add_f32 v[8:9], v[14:15], v[10:11] neg_lo:[0,1] neg_hi:[0,1]
	v_pk_add_f32 v[6:7], v[6:7], v[12:13]
	v_fma_f32 v13, -0.5, v111, v5
	v_mov_b32_e32 v12, v9
	v_pk_add_f32 v[8:9], v[8:9], v[12:13]
	v_fmamk_f32 v70, v112, 0x3f737871, v13
	v_mov_b32_e32 v9, v114
	v_pk_mul_f32 v[8:9], v[8:9], s[8:9]
	v_fmac_f32_e32 v13, 0xbf737871, v112
	v_add_f32_e32 v1, v9, v70
	v_add_f32_e32 v12, v8, v1
	v_sub_f32_e32 v1, v13, v9
	v_pk_add_f32 v[10:11], v[10:11], v[14:15] neg_lo:[0,1] neg_hi:[0,1]
	v_add_f32_e32 v8, v8, v1
	v_mov_b32_e32 v14, v11
	v_pk_add_f32 v[10:11], v[10:11], v[14:15]
	v_pk_mul_f32 v[8:9], v[8:9], s[10:11] op_sel_hi:[0,1]
	v_fmac_f32_e32 v5, -0.5, v123
	v_mov_b32_e32 v11, v112
	v_pk_fma_f32 v[2:3], v[2:3], s[14:15], v[8:9] op_sel_hi:[0,1,1] neg_lo:[0,0,1] neg_hi:[0,0,1]
	v_pk_add_f32 v[8:9], v[76:77], v[78:79]
	v_pk_add_f32 v[112:113], v[120:121], v[108:109] neg_lo:[0,1] neg_hi:[0,1]
	v_add_f32_e32 v4, v116, v4
	v_fmamk_f32 v1, v114, 0xbf737871, v5
	v_pk_mul_f32 v[10:11], v[10:11], s[8:9]
	v_pk_fma_f32 v[8:9], v[8:9], 0.5, v[72:73] op_sel_hi:[1,0,1] neg_lo:[1,0,0] neg_hi:[1,0,0]
	v_pk_mul_f32 v[70:71], v[112:113], s[2:3] op_sel_hi:[1,0]
	v_pk_add_f32 v[116:117], v[76:77], v[78:79] neg_lo:[0,1] neg_hi:[0,1]
	v_pk_add_f32 v[106:107], v[72:73], v[120:121]
	v_add_f32_e32 v1, v11, v1
	v_fmac_f32_e32 v5, 0x3f737871, v114
	v_pk_add_f32 v[114:115], v[8:9], v[70:71] op_sel:[0,1] op_sel_hi:[1,0]
	v_pk_mul_f32 v[118:119], v[116:117], s[10:11] op_sel_hi:[1,0]
	v_pk_add_f32 v[8:9], v[8:9], v[70:71] op_sel:[0,1] op_sel_hi:[1,0] neg_lo:[0,1] neg_hi:[0,1]
	v_pk_add_f32 v[106:107], v[106:107], v[76:77]
	v_add_f32_e32 v14, v10, v1
	v_sub_f32_e32 v1, v5, v11
	v_pk_add_f32 v[114:115], v[118:119], v[114:115] op_sel:[1,0] op_sel_hi:[0,1]
	v_pk_add_f32 v[8:9], v[8:9], v[118:119] op_sel:[0,1] op_sel_hi:[1,0] neg_lo:[0,1] neg_hi:[0,1]
	v_pk_add_f32 v[118:119], v[120:121], v[76:77] neg_lo:[0,1] neg_hi:[0,1]
	v_pk_add_f32 v[122:123], v[108:109], v[78:79] neg_lo:[0,1] neg_hi:[0,1]
	s_mov_b32 s14, s11
	v_pk_mul_f32 v[12:13], v[12:13], s[10:11] op_sel_hi:[0,1]
	v_pk_add_f32 v[106:107], v[106:107], v[78:79]
	v_add_f32_e32 v10, v10, v1
	v_mov_b32_e32 v70, v8
	v_mov_b32_e32 v71, v115
	v_pk_add_f32 v[118:119], v[118:119], v[122:123]
	v_pk_fma_f32 v[124:125], v[0:1], s[14:15], v[12:13] neg_lo:[0,0,1] neg_hi:[0,0,1]
	v_pk_fma_f32 v[0:1], v[0:1], s[14:15], v[12:13] op_sel_hi:[0,1,1]
	v_pk_add_f32 v[106:107], v[106:107], v[108:109]
	v_pk_add_f32 v[6:7], v[6:7], v[74:75]
	v_pk_fma_f32 v[122:123], v[118:119], s[8:9], v[70:71] op_sel_hi:[1,0,1]
	v_mov_b32_e32 v125, v1
	v_pk_add_f32 v[74:75], v[106:107], v[6:7]
	v_pk_add_f32 v[0:1], v[122:123], v[124:125]
	s_barrier
	v_mov_b32_e32 v115, v9
	ds_write2_b64 v140, v[74:75], v[0:1] offset1:5
	v_pk_add_f32 v[0:1], v[120:121], v[108:109]
	s_mov_b32 s3, s8
	v_pk_fma_f32 v[8:9], v[118:119], s[8:9], v[114:115] op_sel_hi:[1,0,1]
	v_pk_fma_f32 v[0:1], v[0:1], 0.5, v[72:73] op_sel_hi:[1,0,1] neg_lo:[1,0,0] neg_hi:[1,0,0]
	v_pk_add_f32 v[12:13], v[76:77], v[120:121] neg_lo:[0,1] neg_hi:[0,1]
	v_pk_add_f32 v[72:73], v[78:79], v[108:109] neg_lo:[0,1] neg_hi:[0,1]
	s_mov_b32 s9, s2
	v_pk_mul_f32 v[14:15], v[14:15], s[2:3] op_sel_hi:[0,1]
	v_pk_add_f32 v[12:13], v[12:13], v[72:73]
	v_pk_fma_f32 v[72:73], v[4:5], s[8:9], v[14:15] neg_lo:[0,0,1] neg_hi:[0,0,1]
	v_pk_fma_f32 v[4:5], v[4:5], s[8:9], v[14:15] op_sel_hi:[0,1,1]
	v_mov_b32_e32 v73, v5
	v_pk_mul_f32 v[4:5], v[116:117], s[2:3] op_sel_hi:[1,0]
	v_pk_mul_f32 v[14:15], v[112:113], s[10:11] op_sel_hi:[1,0]
	v_pk_add_f32 v[74:75], v[0:1], v[4:5] op_sel:[0,1] op_sel_hi:[1,0]
	v_pk_add_f32 v[0:1], v[0:1], v[4:5] op_sel:[0,1] op_sel_hi:[1,0] neg_lo:[0,1] neg_hi:[0,1]
	v_pk_add_f32 v[4:5], v[74:75], v[14:15] op_sel:[0,1] op_sel_hi:[1,0] neg_lo:[0,1] neg_hi:[0,1]
	v_pk_add_f32 v[0:1], v[0:1], v[14:15] op_sel:[0,1] op_sel_hi:[1,0]
	v_mov_b32_e32 v14, v4
	v_mov_b32_e32 v15, v1
	s_mov_b32 s10, 0xbe9e377a
	s_mov_b32 s11, s2
	v_pk_mul_f32 v[10:11], v[10:11], s[2:3] op_sel_hi:[0,1]
	v_mov_b32_e32 v1, v5
	v_pk_fma_f32 v[14:15], v[12:13], s[8:9], v[14:15] op_sel_hi:[1,0,1]
	v_pk_fma_f32 v[10:11], v[110:111], s[10:11], v[10:11] op_sel_hi:[0,1,1] neg_lo:[0,0,1] neg_hi:[0,0,1]
	v_pk_fma_f32 v[0:1], v[12:13], s[8:9], v[0:1] op_sel_hi:[1,0,1]
	v_pk_add_f32 v[74:75], v[14:15], v[72:73]
	v_pk_add_f32 v[4:5], v[0:1], v[10:11]
	v_pk_add_f32 v[70:71], v[8:9], v[2:3] neg_lo:[0,1] neg_hi:[0,1]
	ds_write2_b64 v140, v[74:75], v[4:5] offset0:10 offset1:15
	v_pk_add_f32 v[2:3], v[8:9], v[2:3]
	v_pk_add_f32 v[4:5], v[106:107], v[6:7] neg_lo:[0,1] neg_hi:[0,1]
	ds_write2_b64 v140, v[2:3], v[4:5] offset0:20 offset1:25
	v_pk_add_f32 v[2:3], v[122:123], v[124:125] neg_lo:[0,1] neg_hi:[0,1]
	v_pk_add_f32 v[4:5], v[14:15], v[72:73] neg_lo:[0,1] neg_hi:[0,1]
	;; [unrolled: 1-line block ×3, first 2 shown]
	ds_write2_b64 v140, v[2:3], v[4:5] offset0:30 offset1:35
	ds_write2_b64 v140, v[0:1], v[70:71] offset0:40 offset1:45
	s_waitcnt lgkmcnt(0)
	s_barrier
	ds_read2_b64 v[8:11], v80 offset1:135
	ds_read2_b64 v[0:3], v65 offset0:14 offset1:194
	ds_read2_b64 v[12:15], v83 offset0:4 offset1:139
	;; [unrolled: 1-line block ×3, first 2 shown]
	ds_read_b64 v[64:65], v80 offset:9360
	s_and_saveexec_b64 s[2:3], s[0:1]
	s_xor_b64 s[2:3], exec, s[2:3]
	s_or_saveexec_b64 s[2:3], s[2:3]
	v_mov_b32_e32 v108, v20
	v_mov_b32_e32 v109, v20
	;; [unrolled: 1-line block ×18, first 2 shown]
	s_xor_b64 exec, exec, s[2:3]
	s_cbranch_execz .LBB0_15
; %bb.14:
	ds_read_b64 v[110:111], v80 offset:6840
	ds_read_b64 v[66:67], v80 offset:10440
	ds_read_b64 v[70:71], v80 offset:3240
	s_waitcnt lgkmcnt(2)
	v_mov_b32_e32 v68, v110
	s_waitcnt lgkmcnt(1)
	v_mov_b32_e32 v69, v67
	v_mov_b32_e32 v67, v111
.LBB0_15:
	s_or_b64 exec, exec, s[2:3]
	s_waitcnt lgkmcnt(1)
	v_pk_mul_f32 v[112:113], v[16:17], v[4:5]
	v_pk_mul_f32 v[16:17], v[24:25], v[66:67] op_sel:[0,1]
	v_pk_mul_f32 v[110:111], v[20:21], v[2:3]
	v_pk_mul_f32 v[114:115], v[18:19], v[14:15]
	v_pk_mul_f32 v[18:19], v[26:27], v[68:69] op_sel:[0,1]
	v_pk_fma_f32 v[20:21], v[24:25], v[68:69], v[16:17] op_sel:[0,0,1] op_sel_hi:[1,1,0]
	v_pk_fma_f32 v[16:17], v[24:25], v[68:69], v[16:17] op_sel:[0,0,1] op_sel_hi:[1,0,0] neg_lo:[1,0,0] neg_hi:[1,0,0]
	s_mov_b32 s2, 0x3f5db3d7
	v_mov_b32_e32 v21, v17
	v_pk_fma_f32 v[16:17], v[26:27], v[66:67], v[18:19] op_sel:[0,0,1] op_sel_hi:[1,1,0]
	v_pk_fma_f32 v[18:19], v[26:27], v[66:67], v[18:19] op_sel:[0,0,1] op_sel_hi:[1,0,0] neg_lo:[1,0,0] neg_hi:[1,0,0]
	v_pk_mul_f32 v[22:23], v[22:23], v[12:13]
	v_mov_b32_e32 v17, v19
	s_waitcnt lgkmcnt(0)
	v_pk_add_f32 v[18:19], v[70:71], v[20:21]
	v_pk_add_f32 v[24:25], v[20:21], v[16:17]
	;; [unrolled: 1-line block ×3, first 2 shown]
	v_pk_add_f32 v[16:17], v[20:21], v[16:17] neg_lo:[0,1] neg_hi:[0,1]
	v_pk_fma_f32 v[24:25], v[24:25], 0.5, v[70:71] op_sel_hi:[1,0,1] neg_lo:[1,0,0] neg_hi:[1,0,0]
	v_pk_mul_f32 v[20:21], v[16:17], s[2:3] op_sel_hi:[1,0]
	s_nop 0
	v_pk_add_f32 v[16:17], v[20:21], v[24:25] op_sel:[1,0] op_sel_hi:[0,1]
	v_pk_add_f32 v[20:21], v[24:25], v[20:21] op_sel:[0,1] op_sel_hi:[1,0] neg_lo:[0,1] neg_hi:[0,1]
	v_pk_fma_f32 v[24:25], v[108:109], v[2:3], v[110:111] op_sel:[0,0,1] op_sel_hi:[1,1,0]
	v_pk_fma_f32 v[2:3], v[108:109], v[2:3], v[110:111] op_sel:[0,0,1] op_sel_hi:[1,1,0] neg_lo:[0,0,1] neg_hi:[0,0,1]
	s_barrier
	v_mov_b32_e32 v25, v3
	v_pk_fma_f32 v[2:3], v[106:107], v[12:13], v[22:23] op_sel:[0,0,1] op_sel_hi:[1,1,0]
	v_pk_fma_f32 v[12:13], v[106:107], v[12:13], v[22:23] op_sel:[0,0,1] op_sel_hi:[1,1,0] neg_lo:[0,0,1] neg_hi:[0,0,1]
	s_nop 0
	v_mov_b32_e32 v3, v13
	v_pk_add_f32 v[12:13], v[8:9], v[24:25]
	v_pk_add_f32 v[22:23], v[24:25], v[2:3]
	;; [unrolled: 1-line block ×3, first 2 shown]
	v_pk_add_f32 v[2:3], v[24:25], v[2:3] neg_lo:[0,1] neg_hi:[0,1]
	v_pk_fma_f32 v[8:9], v[22:23], 0.5, v[8:9] op_sel_hi:[1,0,1] neg_lo:[1,0,0] neg_hi:[1,0,0]
	v_pk_mul_f32 v[2:3], v[2:3], s[2:3] op_sel_hi:[1,0]
	v_pk_mul_f32 v[28:29], v[28:29], v[6:7]
	v_pk_add_f32 v[22:23], v[8:9], v[2:3] op_sel:[0,1] op_sel_hi:[1,0] neg_lo:[0,1] neg_hi:[0,1]
	v_pk_add_f32 v[2:3], v[8:9], v[2:3] op_sel:[0,1] op_sel_hi:[1,0]
	v_mov_b32_e32 v8, v22
	v_mov_b32_e32 v9, v3
	;; [unrolled: 1-line block ×3, first 2 shown]
	ds_write_b64 v142, v[2:3] offset:800
	v_pk_fma_f32 v[2:3], v[78:79], v[4:5], v[112:113] op_sel:[0,0,1] op_sel_hi:[1,1,0]
	v_pk_fma_f32 v[4:5], v[78:79], v[4:5], v[112:113] op_sel:[0,0,1] op_sel_hi:[1,1,0] neg_lo:[0,0,1] neg_hi:[0,0,1]
	ds_write2_b64 v142, v[12:13], v[8:9] offset1:50
	v_mov_b32_e32 v3, v5
	v_pk_fma_f32 v[4:5], v[76:77], v[14:15], v[114:115] op_sel:[0,0,1] op_sel_hi:[1,1,0]
	v_pk_fma_f32 v[8:9], v[76:77], v[14:15], v[114:115] op_sel:[0,0,1] op_sel_hi:[1,1,0] neg_lo:[0,0,1] neg_hi:[0,0,1]
	v_pk_mul_f32 v[30:31], v[30:31], v[64:65]
	v_mov_b32_e32 v5, v9
	v_pk_add_f32 v[8:9], v[2:3], v[4:5]
	v_pk_add_f32 v[12:13], v[2:3], v[4:5] neg_lo:[0,1] neg_hi:[0,1]
	v_pk_fma_f32 v[8:9], v[8:9], 0.5, v[10:11] op_sel_hi:[1,0,1] neg_lo:[1,0,0] neg_hi:[1,0,0]
	v_pk_mul_f32 v[12:13], v[12:13], s[2:3] op_sel_hi:[1,0]
	v_pk_add_f32 v[2:3], v[10:11], v[2:3]
	v_pk_add_f32 v[14:15], v[8:9], v[12:13] op_sel:[0,1] op_sel_hi:[1,0]
	v_pk_add_f32 v[8:9], v[8:9], v[12:13] op_sel:[0,1] op_sel_hi:[1,0] neg_lo:[0,1] neg_hi:[0,1]
	v_pk_add_f32 v[2:3], v[2:3], v[4:5]
	v_mov_b32_e32 v4, v8
	v_mov_b32_e32 v5, v15
	ds_write2_b64 v141, v[2:3], v[4:5] offset1:50
	v_pk_fma_f32 v[2:3], v[74:75], v[6:7], v[28:29] op_sel:[0,0,1] op_sel_hi:[1,1,0]
	v_pk_fma_f32 v[4:5], v[74:75], v[6:7], v[28:29] op_sel:[0,0,1] op_sel_hi:[1,1,0] neg_lo:[0,0,1] neg_hi:[0,0,1]
	v_pk_fma_f32 v[6:7], v[72:73], v[64:65], v[30:31] op_sel:[0,0,1] op_sel_hi:[1,1,0] neg_lo:[0,0,1] neg_hi:[0,0,1]
	v_mov_b32_e32 v3, v5
	v_pk_fma_f32 v[4:5], v[72:73], v[64:65], v[30:31] op_sel:[0,0,1] op_sel_hi:[1,1,0]
	v_mov_b32_e32 v15, v9
	v_mov_b32_e32 v5, v7
	v_pk_add_f32 v[6:7], v[2:3], v[4:5]
	v_pk_add_f32 v[8:9], v[2:3], v[4:5] neg_lo:[0,1] neg_hi:[0,1]
	v_pk_fma_f32 v[6:7], v[6:7], 0.5, v[0:1] op_sel_hi:[1,0,1] neg_lo:[1,0,0] neg_hi:[1,0,0]
	v_pk_mul_f32 v[8:9], v[8:9], s[2:3] op_sel_hi:[1,0]
	v_pk_add_f32 v[0:1], v[0:1], v[2:3]
	v_pk_add_f32 v[10:11], v[6:7], v[8:9] op_sel:[0,1] op_sel_hi:[1,0]
	v_pk_add_f32 v[6:7], v[6:7], v[8:9] op_sel:[0,1] op_sel_hi:[1,0] neg_lo:[0,1] neg_hi:[0,1]
	v_pk_add_f32 v[0:1], v[0:1], v[4:5]
	v_mov_b32_e32 v2, v6
	v_mov_b32_e32 v3, v11
	;; [unrolled: 1-line block ×3, first 2 shown]
	ds_write_b64 v141, v[14:15] offset:800
	ds_write2_b64 v143, v[0:1], v[2:3] offset1:50
	ds_write_b64 v143, v[10:11] offset:800
	s_and_saveexec_b64 s[2:3], vcc
	s_cbranch_execz .LBB0_17
; %bb.16:
	v_mov_b32_e32 v0, v20
	v_mov_b32_e32 v1, v17
	v_add_u32_e32 v2, 0x2000, v144
	ds_write2_b64 v2, v[18:19], v[0:1] offset0:176 offset1:226
	v_mov_b32_e32 v0, v16
	v_mov_b32_e32 v1, v21
	ds_write_b64 v144, v[0:1] offset:10400
.LBB0_17:
	s_or_b64 exec, exec, s[2:3]
	v_add_u32_e32 v4, 0x1c00, v80
	s_waitcnt lgkmcnt(0)
	s_barrier
	v_add_u32_e32 v0, 0x800, v80
	ds_read2_b64 v[12:15], v4 offset0:4 offset1:139
	v_add_u32_e32 v4, 0x1000, v80
	ds_read2_b64 v[8:11], v80 offset1:135
	ds_read2_b64 v[0:3], v0 offset0:14 offset1:194
	ds_read2_b64 v[4:7], v4 offset0:73 offset1:208
	ds_read_b64 v[22:23], v80 offset:9360
	s_and_saveexec_b64 s[2:3], s[0:1]
	s_xor_b64 s[2:3], exec, s[2:3]
	s_or_saveexec_b64 s[2:3], s[2:3]
	v_mov_b32_e32 v66, v32
	v_mov_b32_e32 v67, v32
	;; [unrolled: 1-line block ×18, first 2 shown]
	s_xor_b64 exec, exec, s[2:3]
	s_cbranch_execz .LBB0_19
; %bb.18:
	ds_read_b64 v[68:69], v80 offset:10440
	ds_read_b64 v[20:21], v80 offset:6840
	;; [unrolled: 1-line block ×3, first 2 shown]
	s_waitcnt lgkmcnt(2)
	v_mov_b32_e32 v16, v68
	s_waitcnt lgkmcnt(1)
	v_mov_b32_e32 v17, v21
	v_mov_b32_e32 v21, v69
.LBB0_19:
	s_or_b64 exec, exec, s[2:3]
	v_pk_mul_f32 v[68:69], v[40:41], v[16:17] op_sel:[0,1]
	v_pk_mul_f32 v[70:71], v[42:43], v[20:21] op_sel:[0,1]
	v_pk_fma_f32 v[72:73], v[40:41], v[20:21], v[68:69] op_sel:[0,0,1] op_sel_hi:[1,1,0]
	v_pk_fma_f32 v[20:21], v[40:41], v[20:21], v[68:69] op_sel:[0,0,1] op_sel_hi:[1,0,0] neg_lo:[1,0,0] neg_hi:[1,0,0]
	s_mov_b32 s2, 0x3f5db3d7
	v_mov_b32_e32 v73, v21
	v_pk_fma_f32 v[20:21], v[42:43], v[16:17], v[70:71] op_sel:[0,0,1] op_sel_hi:[1,1,0]
	v_pk_fma_f32 v[16:17], v[42:43], v[16:17], v[70:71] op_sel:[0,0,1] op_sel_hi:[1,0,0] neg_lo:[1,0,0] neg_hi:[1,0,0]
	s_waitcnt lgkmcnt(2)
	v_pk_mul_f32 v[32:33], v[32:33], v[2:3]
	v_mov_b32_e32 v21, v17
	v_pk_add_f32 v[40:41], v[72:73], v[20:21]
	s_waitcnt lgkmcnt(0)
	v_pk_add_f32 v[16:17], v[18:19], v[72:73]
	v_pk_fma_f32 v[40:41], v[40:41], 0.5, v[18:19] op_sel_hi:[1,0,1] neg_lo:[1,0,0] neg_hi:[1,0,0]
	v_pk_add_f32 v[18:19], v[72:73], v[20:21] neg_lo:[0,1] neg_hi:[0,1]
	v_pk_add_f32 v[16:17], v[16:17], v[20:21]
	v_pk_mul_f32 v[20:21], v[18:19], s[2:3] op_sel_hi:[1,0]
	v_pk_mul_f32 v[34:35], v[34:35], v[12:13]
	v_pk_add_f32 v[18:19], v[20:21], v[40:41] op_sel:[1,0] op_sel_hi:[0,1]
	v_pk_add_f32 v[20:21], v[40:41], v[20:21] op_sel:[0,1] op_sel_hi:[1,0] neg_lo:[0,1] neg_hi:[0,1]
	v_pk_fma_f32 v[40:41], v[66:67], v[2:3], v[32:33] op_sel:[0,0,1] op_sel_hi:[1,1,0]
	v_pk_fma_f32 v[2:3], v[66:67], v[2:3], v[32:33] op_sel:[0,0,1] op_sel_hi:[1,1,0] neg_lo:[0,0,1] neg_hi:[0,0,1]
	v_pk_mul_f32 v[36:37], v[36:37], v[4:5]
	v_mov_b32_e32 v41, v3
	v_pk_fma_f32 v[2:3], v[64:65], v[12:13], v[34:35] op_sel:[0,0,1] op_sel_hi:[1,1,0]
	v_pk_fma_f32 v[12:13], v[64:65], v[12:13], v[34:35] op_sel:[0,0,1] op_sel_hi:[1,1,0] neg_lo:[0,0,1] neg_hi:[0,0,1]
	v_pk_mul_f32 v[38:39], v[38:39], v[14:15]
	v_mov_b32_e32 v3, v13
	v_pk_add_f32 v[12:13], v[40:41], v[2:3]
	v_pk_add_f32 v[32:33], v[40:41], v[2:3] neg_lo:[0,1] neg_hi:[0,1]
	v_pk_fma_f32 v[12:13], v[12:13], 0.5, v[8:9] op_sel_hi:[1,0,1] neg_lo:[1,0,0] neg_hi:[1,0,0]
	v_pk_mul_f32 v[32:33], v[32:33], s[2:3] op_sel_hi:[1,0]
	v_pk_add_f32 v[8:9], v[8:9], v[40:41]
	v_pk_add_f32 v[34:35], v[12:13], v[32:33] op_sel:[0,1] op_sel_hi:[1,0]
	v_pk_add_f32 v[12:13], v[12:13], v[32:33] op_sel:[0,1] op_sel_hi:[1,0] neg_lo:[0,1] neg_hi:[0,1]
	v_pk_add_f32 v[2:3], v[8:9], v[2:3]
	v_mov_b32_e32 v8, v12
	v_mov_b32_e32 v9, v35
	s_barrier
	ds_write2_b64 v80, v[2:3], v[8:9] offset1:150
	v_pk_fma_f32 v[2:3], v[30:31], v[4:5], v[36:37] op_sel:[0,0,1] op_sel_hi:[1,1,0]
	v_pk_fma_f32 v[4:5], v[30:31], v[4:5], v[36:37] op_sel:[0,0,1] op_sel_hi:[1,1,0] neg_lo:[0,0,1] neg_hi:[0,0,1]
	v_pk_fma_f32 v[8:9], v[28:29], v[14:15], v[38:39] op_sel:[0,0,1] op_sel_hi:[1,1,0] neg_lo:[0,0,1] neg_hi:[0,0,1]
	v_mov_b32_e32 v3, v5
	v_pk_fma_f32 v[4:5], v[28:29], v[14:15], v[38:39] op_sel:[0,0,1] op_sel_hi:[1,1,0]
	v_mov_b32_e32 v35, v13
	v_mov_b32_e32 v5, v9
	v_pk_add_f32 v[8:9], v[10:11], v[2:3]
	v_pk_add_f32 v[12:13], v[2:3], v[4:5]
	v_pk_add_f32 v[2:3], v[2:3], v[4:5] neg_lo:[0,1] neg_hi:[0,1]
	v_pk_fma_f32 v[10:11], v[12:13], 0.5, v[10:11] op_sel_hi:[1,0,1] neg_lo:[1,0,0] neg_hi:[1,0,0]
	v_pk_mul_f32 v[2:3], v[2:3], s[2:3] op_sel_hi:[1,0]
	v_pk_add_f32 v[8:9], v[8:9], v[4:5]
	v_pk_add_f32 v[4:5], v[10:11], v[2:3] op_sel:[0,1] op_sel_hi:[1,0] neg_lo:[0,1] neg_hi:[0,1]
	v_pk_add_f32 v[2:3], v[10:11], v[2:3] op_sel:[0,1] op_sel_hi:[1,0]
	v_pk_mul_f32 v[44:45], v[44:45], v[6:7]
	v_mov_b32_e32 v11, v3
	v_mov_b32_e32 v3, v5
	v_pk_mul_f32 v[46:47], v[46:47], v[22:23]
	ds_write_b64 v80, v[34:35] offset:2400
	v_mov_b32_e32 v10, v4
	ds_write_b64 v145, v[2:3] offset:2400
	v_pk_fma_f32 v[2:3], v[26:27], v[6:7], v[44:45] op_sel:[0,0,1] op_sel_hi:[1,1,0]
	v_pk_fma_f32 v[4:5], v[26:27], v[6:7], v[44:45] op_sel:[0,0,1] op_sel_hi:[1,1,0] neg_lo:[0,0,1] neg_hi:[0,0,1]
	v_pk_fma_f32 v[6:7], v[24:25], v[22:23], v[46:47] op_sel:[0,0,1] op_sel_hi:[1,1,0] neg_lo:[0,0,1] neg_hi:[0,0,1]
	v_mov_b32_e32 v3, v5
	v_pk_fma_f32 v[4:5], v[24:25], v[22:23], v[46:47] op_sel:[0,0,1] op_sel_hi:[1,1,0]
	ds_write2_b64 v145, v[8:9], v[10:11] offset1:150
	v_mov_b32_e32 v5, v7
	v_pk_add_f32 v[6:7], v[2:3], v[4:5]
	v_pk_add_f32 v[8:9], v[2:3], v[4:5] neg_lo:[0,1] neg_hi:[0,1]
	v_pk_fma_f32 v[6:7], v[6:7], 0.5, v[0:1] op_sel_hi:[1,0,1] neg_lo:[1,0,0] neg_hi:[1,0,0]
	v_pk_mul_f32 v[8:9], v[8:9], s[2:3] op_sel_hi:[1,0]
	v_pk_add_f32 v[0:1], v[0:1], v[2:3]
	v_pk_add_f32 v[10:11], v[6:7], v[8:9] op_sel:[0,1] op_sel_hi:[1,0]
	v_pk_add_f32 v[6:7], v[6:7], v[8:9] op_sel:[0,1] op_sel_hi:[1,0] neg_lo:[0,1] neg_hi:[0,1]
	v_pk_add_f32 v[0:1], v[0:1], v[4:5]
	v_mov_b32_e32 v2, v6
	v_mov_b32_e32 v3, v11
	;; [unrolled: 1-line block ×3, first 2 shown]
	ds_write2_b64 v146, v[0:1], v[2:3] offset1:150
	ds_write_b64 v146, v[10:11] offset:2400
	s_and_saveexec_b64 s[2:3], vcc
	s_cbranch_execz .LBB0_21
; %bb.20:
	v_mov_b32_e32 v0, v20
	v_mov_b32_e32 v1, v19
	v_add_u32_e32 v2, 0x1c00, v147
	ds_write2_b64 v2, v[16:17], v[0:1] offset0:4 offset1:154
	v_mov_b32_e32 v0, v18
	v_mov_b32_e32 v1, v21
	ds_write_b64 v147, v[0:1] offset:9600
.LBB0_21:
	s_or_b64 exec, exec, s[2:3]
	v_add_u32_e32 v4, 0x1c00, v80
	s_waitcnt lgkmcnt(0)
	s_barrier
	v_add_u32_e32 v0, 0x800, v80
	ds_read2_b64 v[12:15], v4 offset0:4 offset1:139
	v_add_u32_e32 v4, 0x1000, v80
	ds_read2_b64 v[8:11], v80 offset1:135
	ds_read2_b64 v[0:3], v0 offset0:14 offset1:194
	ds_read2_b64 v[4:7], v4 offset0:73 offset1:208
	ds_read_b64 v[22:23], v80 offset:9360
	s_and_saveexec_b64 s[2:3], s[0:1]
	s_xor_b64 s[0:1], exec, s[2:3]
	s_or_saveexec_b64 s[0:1], s[0:1]
	v_mov_b32_e32 v34, v52
	v_mov_b32_e32 v35, v52
	;; [unrolled: 1-line block ×18, first 2 shown]
	s_xor_b64 exec, exec, s[0:1]
	s_cbranch_execz .LBB0_23
; %bb.22:
	ds_read_b64 v[36:37], v80 offset:10440
	ds_read_b64 v[20:21], v80 offset:6840
	;; [unrolled: 1-line block ×3, first 2 shown]
	s_waitcnt lgkmcnt(2)
	v_mov_b32_e32 v18, v36
	s_waitcnt lgkmcnt(1)
	v_mov_b32_e32 v19, v21
	v_mov_b32_e32 v21, v37
.LBB0_23:
	s_or_b64 exec, exec, s[0:1]
	s_waitcnt lgkmcnt(2)
	v_pk_mul_f32 v[36:37], v[52:53], v[2:3]
	v_pk_mul_f32 v[38:39], v[54:55], v[12:13]
	v_pk_fma_f32 v[52:53], v[34:35], v[2:3], v[36:37] op_sel:[0,0,1] op_sel_hi:[1,1,0]
	v_pk_fma_f32 v[2:3], v[34:35], v[2:3], v[36:37] op_sel:[0,0,1] op_sel_hi:[1,1,0] neg_lo:[0,0,1] neg_hi:[0,0,1]
	s_mov_b32 s0, 0x3f5db3d7
	v_mov_b32_e32 v53, v3
	v_pk_fma_f32 v[2:3], v[32:33], v[12:13], v[38:39] op_sel:[0,0,1] op_sel_hi:[1,1,0]
	v_pk_fma_f32 v[12:13], v[32:33], v[12:13], v[38:39] op_sel:[0,0,1] op_sel_hi:[1,1,0] neg_lo:[0,0,1] neg_hi:[0,0,1]
	s_waitcnt lgkmcnt(1)
	v_pk_mul_f32 v[40:41], v[56:57], v[4:5]
	v_mov_b32_e32 v3, v13
	v_pk_add_f32 v[12:13], v[8:9], v[52:53]
	v_pk_add_f32 v[32:33], v[52:53], v[2:3]
	;; [unrolled: 1-line block ×3, first 2 shown]
	v_pk_add_f32 v[2:3], v[52:53], v[2:3] neg_lo:[0,1] neg_hi:[0,1]
	v_pk_fma_f32 v[8:9], v[32:33], 0.5, v[8:9] op_sel_hi:[1,0,1] neg_lo:[1,0,0] neg_hi:[1,0,0]
	v_pk_mul_f32 v[2:3], v[2:3], s[0:1] op_sel_hi:[1,0]
	v_pk_mul_f32 v[42:43], v[58:59], v[14:15]
	v_pk_add_f32 v[32:33], v[8:9], v[2:3] op_sel:[0,1] op_sel_hi:[1,0] neg_lo:[0,1] neg_hi:[0,1]
	v_pk_add_f32 v[2:3], v[8:9], v[2:3] op_sel:[0,1] op_sel_hi:[1,0]
	v_mov_b32_e32 v8, v32
	v_mov_b32_e32 v9, v3
	;; [unrolled: 1-line block ×3, first 2 shown]
	ds_write_b64 v80, v[2:3] offset:7200
	v_pk_fma_f32 v[2:3], v[30:31], v[4:5], v[40:41] op_sel:[0,0,1] op_sel_hi:[1,1,0]
	v_pk_fma_f32 v[4:5], v[30:31], v[4:5], v[40:41] op_sel:[0,0,1] op_sel_hi:[1,1,0] neg_lo:[0,0,1] neg_hi:[0,0,1]
	ds_write_b64 v80, v[8:9] offset:3600
	v_mov_b32_e32 v3, v5
	v_pk_fma_f32 v[4:5], v[28:29], v[14:15], v[42:43] op_sel:[0,0,1] op_sel_hi:[1,1,0]
	v_pk_fma_f32 v[8:9], v[28:29], v[14:15], v[42:43] op_sel:[0,0,1] op_sel_hi:[1,1,0] neg_lo:[0,0,1] neg_hi:[0,0,1]
	v_pk_mul_f32 v[44:45], v[60:61], v[6:7]
	v_mov_b32_e32 v5, v9
	v_pk_add_f32 v[8:9], v[10:11], v[2:3]
	s_waitcnt lgkmcnt(2)
	v_pk_mul_f32 v[46:47], v[62:63], v[22:23]
	v_pk_add_f32 v[8:9], v[8:9], v[4:5]
	ds_write2_b64 v80, v[12:13], v[8:9] offset1:135
	v_pk_add_f32 v[8:9], v[2:3], v[4:5]
	v_pk_add_f32 v[2:3], v[2:3], v[4:5] neg_lo:[0,1] neg_hi:[0,1]
	v_pk_fma_f32 v[8:9], v[8:9], 0.5, v[10:11] op_sel_hi:[1,0,1] neg_lo:[1,0,0] neg_hi:[1,0,0]
	v_pk_mul_f32 v[2:3], v[2:3], s[0:1] op_sel_hi:[1,0]
	v_pk_fma_f32 v[10:11], v[24:25], v[22:23], v[46:47] op_sel:[0,0,1] op_sel_hi:[1,1,0] neg_lo:[0,0,1] neg_hi:[0,0,1]
	v_pk_add_f32 v[4:5], v[8:9], v[2:3] op_sel:[0,1] op_sel_hi:[1,0] neg_lo:[0,1] neg_hi:[0,1]
	v_pk_add_f32 v[2:3], v[8:9], v[2:3] op_sel:[0,1] op_sel_hi:[1,0]
	v_mov_b32_e32 v8, v4
	v_mov_b32_e32 v9, v3
	;; [unrolled: 1-line block ×3, first 2 shown]
	v_pk_fma_f32 v[4:5], v[26:27], v[6:7], v[44:45] op_sel:[0,0,1] op_sel_hi:[1,1,0]
	v_pk_fma_f32 v[6:7], v[26:27], v[6:7], v[44:45] op_sel:[0,0,1] op_sel_hi:[1,1,0] neg_lo:[0,0,1] neg_hi:[0,0,1]
	s_nop 0
	v_mov_b32_e32 v5, v7
	v_pk_fma_f32 v[6:7], v[24:25], v[22:23], v[46:47] op_sel:[0,0,1] op_sel_hi:[1,1,0]
	s_nop 0
	v_mov_b32_e32 v7, v11
	v_pk_add_f32 v[10:11], v[0:1], v[4:5]
	s_nop 0
	v_pk_add_f32 v[10:11], v[10:11], v[6:7]
	ds_write_b64 v80, v[10:11] offset:2160
	v_pk_add_f32 v[10:11], v[4:5], v[6:7]
	v_pk_add_f32 v[4:5], v[4:5], v[6:7] neg_lo:[0,1] neg_hi:[0,1]
	v_pk_fma_f32 v[0:1], v[10:11], 0.5, v[0:1] op_sel_hi:[1,0,1] neg_lo:[1,0,0] neg_hi:[1,0,0]
	v_pk_mul_f32 v[4:5], v[4:5], s[0:1] op_sel_hi:[1,0]
	s_nop 0
	v_pk_add_f32 v[6:7], v[0:1], v[4:5] op_sel:[0,1] op_sel_hi:[1,0] neg_lo:[0,1] neg_hi:[0,1]
	v_pk_add_f32 v[4:5], v[0:1], v[4:5] op_sel:[0,1] op_sel_hi:[1,0]
	v_mov_b32_e32 v10, v6
	v_mov_b32_e32 v11, v5
	v_add_u32_e32 v1, 0x1000, v80
	v_mov_b32_e32 v5, v7
	v_add_u32_e32 v0, 0x2000, v80
	ds_write2_b64 v1, v[8:9], v[10:11] offset0:73 offset1:208
	ds_write2_b64 v0, v[2:3], v[4:5] offset0:11 offset1:146
	s_and_saveexec_b64 s[2:3], vcc
	s_cbranch_execz .LBB0_25
; %bb.24:
	v_pk_mul_f32 v[2:3], v[48:49], v[18:19] op_sel:[0,1]
	v_pk_mul_f32 v[4:5], v[50:51], v[20:21] op_sel:[0,1]
	v_pk_fma_f32 v[6:7], v[48:49], v[20:21], v[2:3] op_sel:[0,0,1] op_sel_hi:[1,1,0]
	v_pk_fma_f32 v[2:3], v[48:49], v[20:21], v[2:3] op_sel:[0,0,1] op_sel_hi:[1,0,0] neg_lo:[1,0,0] neg_hi:[1,0,0]
	s_nop 0
	v_mov_b32_e32 v7, v3
	v_pk_fma_f32 v[2:3], v[50:51], v[18:19], v[4:5] op_sel:[0,0,1] op_sel_hi:[1,1,0]
	v_pk_fma_f32 v[4:5], v[50:51], v[18:19], v[4:5] op_sel:[0,0,1] op_sel_hi:[1,0,0] neg_lo:[1,0,0] neg_hi:[1,0,0]
	s_nop 0
	v_mov_b32_e32 v3, v5
	v_pk_add_f32 v[4:5], v[16:17], v[6:7]
	s_nop 0
	v_pk_add_f32 v[4:5], v[4:5], v[2:3]
	ds_write_b64 v80, v[4:5] offset:3240
	v_pk_add_f32 v[4:5], v[6:7], v[2:3]
	v_pk_add_f32 v[2:3], v[6:7], v[2:3] neg_lo:[0,1] neg_hi:[0,1]
	v_pk_fma_f32 v[4:5], -0.5, v[4:5], v[16:17] op_sel_hi:[0,1,1]
	v_pk_mul_f32 v[2:3], v[2:3], s[0:1] op_sel_hi:[1,0]
	s_nop 0
	v_pk_add_f32 v[6:7], v[4:5], v[2:3] op_sel:[0,1] op_sel_hi:[1,0] neg_lo:[0,1] neg_hi:[0,1]
	v_pk_add_f32 v[2:3], v[4:5], v[2:3] op_sel:[0,1] op_sel_hi:[1,0]
	v_mov_b32_e32 v4, v6
	v_mov_b32_e32 v5, v3
	;; [unrolled: 1-line block ×3, first 2 shown]
	ds_write_b64 v80, v[4:5] offset:6840
	ds_write_b64 v80, v[2:3] offset:10440
.LBB0_25:
	s_or_b64 exec, exec, s[2:3]
	s_waitcnt lgkmcnt(0)
	s_barrier
	ds_read2_b64 v[2:5], v80 offset1:135
	v_mad_u64_u32 v[12:13], s[0:1], s6, v94, 0
	v_mov_b32_e32 v6, v13
	v_mad_u64_u32 v[6:7], s[0:1], s7, v94, v[6:7]
	v_mov_b32_e32 v13, v6
	s_waitcnt lgkmcnt(0)
	v_mul_f32_e32 v6, v105, v3
	v_fmac_f32_e32 v6, v104, v2
	v_mul_f32_e32 v2, v105, v2
	s_mov_b32 s0, 0xa0ce5129
	v_fma_f32 v2, v104, v3, -v2
	s_mov_b32 s1, 0x3f4845c8
	v_cvt_f64_f32_e32 v[2:3], v2
	v_cvt_f64_f32_e32 v[6:7], v6
	v_mul_f64 v[2:3], v[2:3], s[0:1]
	v_mul_f64 v[6:7], v[6:7], s[0:1]
	v_cvt_f32_f64_e32 v15, v[2:3]
	v_mad_u64_u32 v[2:3], s[2:3], s4, v82, 0
	v_cvt_f32_f64_e32 v14, v[6:7]
	v_mov_b32_e32 v6, v3
	v_add_u32_e32 v3, 0x800, v80
	v_mad_u64_u32 v[16:17], s[2:3], s5, v82, v[6:7]
	ds_read2_b64 v[6:9], v3 offset0:14 offset1:149
	v_mov_b32_e32 v10, s12
	v_mov_b32_e32 v11, s13
	;; [unrolled: 1-line block ×3, first 2 shown]
	v_lshl_add_u64 v[10:11], v[12:13], 3, v[10:11]
	v_lshl_add_u64 v[2:3], v[2:3], 3, v[10:11]
	s_waitcnt lgkmcnt(0)
	v_mul_f32_e32 v10, v103, v7
	v_fmac_f32_e32 v10, v102, v6
	v_cvt_f64_f32_e32 v[10:11], v10
	v_mul_f64 v[10:11], v[10:11], s[0:1]
	global_store_dwordx2 v[2:3], v[14:15], off
	v_cvt_f32_f64_e32 v14, v[10:11]
	ds_read2_b64 v[10:13], v1 offset0:28 offset1:163
	v_mul_f32_e32 v6, v103, v6
	v_fma_f32 v6, v102, v7, -v6
	v_cvt_f64_f32_e32 v[6:7], v6
	v_mul_f64 v[6:7], v[6:7], s[0:1]
	s_waitcnt lgkmcnt(0)
	v_mul_f32_e32 v1, v99, v11
	v_fmac_f32_e32 v1, v98, v10
	v_cvt_f32_f64_e32 v15, v[6:7]
	v_mov_b32_e32 v18, 0x870
	v_cvt_f64_f32_e32 v[6:7], v1
	v_mul_f32_e32 v1, v99, v10
	v_mad_u64_u32 v[2:3], s[2:3], s4, v18, v[2:3]
	s_mul_i32 s6, s5, 0x870
	v_fma_f32 v1, v98, v11, -v1
	v_add_u32_e32 v3, s6, v3
	v_cvt_f64_f32_e32 v[10:11], v1
	v_add_u32_e32 v1, 0x1800, v80
	global_store_dwordx2 v[2:3], v[14:15], off
	ds_read2_b64 v[14:17], v1 offset0:42 offset1:177
	v_mul_f64 v[6:7], v[6:7], s[0:1]
	v_mul_f64 v[10:11], v[10:11], s[0:1]
	v_cvt_f32_f64_e32 v6, v[6:7]
	v_cvt_f32_f64_e32 v7, v[10:11]
	s_waitcnt lgkmcnt(0)
	v_mul_f32_e32 v1, v91, v15
	v_fmac_f32_e32 v1, v90, v14
	v_mad_u64_u32 v[10:11], s[2:3], s4, v18, v[2:3]
	v_cvt_f64_f32_e32 v[2:3], v1
	v_mul_f32_e32 v1, v91, v14
	v_add_u32_e32 v11, s6, v11
	v_mul_f64 v[2:3], v[2:3], s[0:1]
	v_fma_f32 v1, v90, v15, -v1
	global_store_dwordx2 v[10:11], v[6:7], off
	v_cvt_f32_f64_e32 v6, v[2:3]
	v_cvt_f64_f32_e32 v[2:3], v1
	v_mul_f64 v[2:3], v[2:3], s[0:1]
	v_cvt_f32_f64_e32 v7, v[2:3]
	ds_read2_b64 v[0:3], v0 offset0:56 offset1:191
	v_mad_u64_u32 v[10:11], s[2:3], s4, v18, v[10:11]
	v_add_u32_e32 v11, s6, v11
	global_store_dwordx2 v[10:11], v[6:7], off
	s_waitcnt lgkmcnt(0)
	v_mul_f32_e32 v6, v93, v1
	v_fmac_f32_e32 v6, v92, v0
	v_mul_f32_e32 v0, v93, v0
	v_fma_f32 v0, v92, v1, -v0
	v_cvt_f64_f32_e32 v[6:7], v6
	v_cvt_f64_f32_e32 v[0:1], v0
	v_mul_f64 v[6:7], v[6:7], s[0:1]
	v_mul_f64 v[0:1], v[0:1], s[0:1]
	v_cvt_f32_f64_e32 v6, v[6:7]
	v_cvt_f32_f64_e32 v7, v[0:1]
	v_mad_u64_u32 v[0:1], s[2:3], s4, v18, v[10:11]
	v_add_u32_e32 v1, s6, v1
	global_store_dwordx2 v[0:1], v[6:7], off
	v_mul_f32_e32 v6, v101, v5
	v_fmac_f32_e32 v6, v100, v4
	v_mul_f32_e32 v4, v101, v4
	v_fma_f32 v4, v100, v5, -v4
	v_cvt_f64_f32_e32 v[6:7], v6
	v_cvt_f64_f32_e32 v[4:5], v4
	v_mul_f64 v[6:7], v[6:7], s[0:1]
	v_mul_f64 v[4:5], v[4:5], s[0:1]
	v_cvt_f32_f64_e32 v6, v[6:7]
	v_cvt_f32_f64_e32 v7, v[4:5]
	v_mov_b32_e32 v4, 0xffffe278
	v_mad_u64_u32 v[0:1], s[2:3], s4, v4, v[0:1]
	v_mul_f32_e32 v4, v89, v9
	v_fmac_f32_e32 v4, v88, v8
	v_cvt_f64_f32_e32 v[4:5], v4
	s_mul_i32 s2, s5, 0xffffe278
	v_mul_f64 v[4:5], v[4:5], s[0:1]
	s_sub_i32 s2, s2, s4
	v_cvt_f32_f64_e32 v4, v[4:5]
	v_mul_f32_e32 v5, v89, v8
	v_add_u32_e32 v1, s2, v1
	v_fma_f32 v5, v88, v9, -v5
	global_store_dwordx2 v[0:1], v[6:7], off
	v_cvt_f64_f32_e32 v[6:7], v5
	v_mul_f64 v[6:7], v[6:7], s[0:1]
	v_mad_u64_u32 v[0:1], s[2:3], s4, v18, v[0:1]
	v_cvt_f32_f64_e32 v5, v[6:7]
	v_add_u32_e32 v1, s6, v1
	global_store_dwordx2 v[0:1], v[4:5], off
	v_mul_f32_e32 v4, v97, v13
	v_fmac_f32_e32 v4, v96, v12
	v_cvt_f64_f32_e32 v[4:5], v4
	v_mul_f64 v[4:5], v[4:5], s[0:1]
	v_cvt_f32_f64_e32 v4, v[4:5]
	v_mul_f32_e32 v5, v97, v12
	v_fma_f32 v5, v96, v13, -v5
	v_cvt_f64_f32_e32 v[6:7], v5
	v_mul_f64 v[6:7], v[6:7], s[0:1]
	v_mad_u64_u32 v[0:1], s[2:3], s4, v18, v[0:1]
	v_cvt_f32_f64_e32 v5, v[6:7]
	v_add_u32_e32 v1, s6, v1
	global_store_dwordx2 v[0:1], v[4:5], off
	v_mul_f32_e32 v4, v85, v17
	v_fmac_f32_e32 v4, v84, v16
	v_cvt_f64_f32_e32 v[4:5], v4
	v_mul_f64 v[4:5], v[4:5], s[0:1]
	v_cvt_f32_f64_e32 v4, v[4:5]
	v_mul_f32_e32 v5, v85, v16
	v_fma_f32 v5, v84, v17, -v5
	v_cvt_f64_f32_e32 v[6:7], v5
	v_mul_f64 v[6:7], v[6:7], s[0:1]
	v_mad_u64_u32 v[0:1], s[2:3], s4, v18, v[0:1]
	v_cvt_f32_f64_e32 v5, v[6:7]
	v_add_u32_e32 v1, s6, v1
	global_store_dwordx2 v[0:1], v[4:5], off
	v_mul_f32_e32 v4, v87, v3
	v_fmac_f32_e32 v4, v86, v2
	v_mul_f32_e32 v2, v87, v2
	v_fma_f32 v2, v86, v3, -v2
	v_cvt_f64_f32_e32 v[4:5], v4
	v_cvt_f64_f32_e32 v[2:3], v2
	v_mul_f64 v[4:5], v[4:5], s[0:1]
	v_mul_f64 v[2:3], v[2:3], s[0:1]
	v_mad_u64_u32 v[0:1], s[0:1], s4, v18, v[0:1]
	v_cvt_f32_f64_e32 v4, v[4:5]
	v_cvt_f32_f64_e32 v5, v[2:3]
	v_add_u32_e32 v1, s6, v1
	global_store_dwordx2 v[0:1], v[4:5], off
.LBB0_26:
	s_endpgm
	.section	.rodata,"a",@progbits
	.p2align	6, 0x0
	.amdhsa_kernel bluestein_single_back_len1350_dim1_sp_op_CI_CI
		.amdhsa_group_segment_fixed_size 10800
		.amdhsa_private_segment_fixed_size 0
		.amdhsa_kernarg_size 104
		.amdhsa_user_sgpr_count 2
		.amdhsa_user_sgpr_dispatch_ptr 0
		.amdhsa_user_sgpr_queue_ptr 0
		.amdhsa_user_sgpr_kernarg_segment_ptr 1
		.amdhsa_user_sgpr_dispatch_id 0
		.amdhsa_user_sgpr_kernarg_preload_length 0
		.amdhsa_user_sgpr_kernarg_preload_offset 0
		.amdhsa_user_sgpr_private_segment_size 0
		.amdhsa_uses_dynamic_stack 0
		.amdhsa_enable_private_segment 0
		.amdhsa_system_sgpr_workgroup_id_x 1
		.amdhsa_system_sgpr_workgroup_id_y 0
		.amdhsa_system_sgpr_workgroup_id_z 0
		.amdhsa_system_sgpr_workgroup_info 0
		.amdhsa_system_vgpr_workitem_id 0
		.amdhsa_next_free_vgpr 164
		.amdhsa_next_free_sgpr 20
		.amdhsa_accum_offset 164
		.amdhsa_reserve_vcc 1
		.amdhsa_float_round_mode_32 0
		.amdhsa_float_round_mode_16_64 0
		.amdhsa_float_denorm_mode_32 3
		.amdhsa_float_denorm_mode_16_64 3
		.amdhsa_dx10_clamp 1
		.amdhsa_ieee_mode 1
		.amdhsa_fp16_overflow 0
		.amdhsa_tg_split 0
		.amdhsa_exception_fp_ieee_invalid_op 0
		.amdhsa_exception_fp_denorm_src 0
		.amdhsa_exception_fp_ieee_div_zero 0
		.amdhsa_exception_fp_ieee_overflow 0
		.amdhsa_exception_fp_ieee_underflow 0
		.amdhsa_exception_fp_ieee_inexact 0
		.amdhsa_exception_int_div_zero 0
	.end_amdhsa_kernel
	.text
.Lfunc_end0:
	.size	bluestein_single_back_len1350_dim1_sp_op_CI_CI, .Lfunc_end0-bluestein_single_back_len1350_dim1_sp_op_CI_CI
                                        ; -- End function
	.section	.AMDGPU.csdata,"",@progbits
; Kernel info:
; codeLenInByte = 11928
; NumSgprs: 26
; NumVgprs: 164
; NumAgprs: 0
; TotalNumVgprs: 164
; ScratchSize: 0
; MemoryBound: 0
; FloatMode: 240
; IeeeMode: 1
; LDSByteSize: 10800 bytes/workgroup (compile time only)
; SGPRBlocks: 3
; VGPRBlocks: 20
; NumSGPRsForWavesPerEU: 26
; NumVGPRsForWavesPerEU: 164
; AccumOffset: 164
; Occupancy: 3
; WaveLimiterHint : 1
; COMPUTE_PGM_RSRC2:SCRATCH_EN: 0
; COMPUTE_PGM_RSRC2:USER_SGPR: 2
; COMPUTE_PGM_RSRC2:TRAP_HANDLER: 0
; COMPUTE_PGM_RSRC2:TGID_X_EN: 1
; COMPUTE_PGM_RSRC2:TGID_Y_EN: 0
; COMPUTE_PGM_RSRC2:TGID_Z_EN: 0
; COMPUTE_PGM_RSRC2:TIDIG_COMP_CNT: 0
; COMPUTE_PGM_RSRC3_GFX90A:ACCUM_OFFSET: 40
; COMPUTE_PGM_RSRC3_GFX90A:TG_SPLIT: 0
	.text
	.p2alignl 6, 3212836864
	.fill 256, 4, 3212836864
	.type	__hip_cuid_4255e686a6b695ac,@object ; @__hip_cuid_4255e686a6b695ac
	.section	.bss,"aw",@nobits
	.globl	__hip_cuid_4255e686a6b695ac
__hip_cuid_4255e686a6b695ac:
	.byte	0                               ; 0x0
	.size	__hip_cuid_4255e686a6b695ac, 1

	.ident	"AMD clang version 19.0.0git (https://github.com/RadeonOpenCompute/llvm-project roc-6.4.0 25133 c7fe45cf4b819c5991fe208aaa96edf142730f1d)"
	.section	".note.GNU-stack","",@progbits
	.addrsig
	.addrsig_sym __hip_cuid_4255e686a6b695ac
	.amdgpu_metadata
---
amdhsa.kernels:
  - .agpr_count:     0
    .args:
      - .actual_access:  read_only
        .address_space:  global
        .offset:         0
        .size:           8
        .value_kind:     global_buffer
      - .actual_access:  read_only
        .address_space:  global
        .offset:         8
        .size:           8
        .value_kind:     global_buffer
      - .actual_access:  read_only
        .address_space:  global
        .offset:         16
        .size:           8
        .value_kind:     global_buffer
      - .actual_access:  read_only
        .address_space:  global
        .offset:         24
        .size:           8
        .value_kind:     global_buffer
      - .actual_access:  read_only
        .address_space:  global
        .offset:         32
        .size:           8
        .value_kind:     global_buffer
      - .offset:         40
        .size:           8
        .value_kind:     by_value
      - .address_space:  global
        .offset:         48
        .size:           8
        .value_kind:     global_buffer
      - .address_space:  global
        .offset:         56
        .size:           8
        .value_kind:     global_buffer
      - .address_space:  global
        .offset:         64
        .size:           8
        .value_kind:     global_buffer
      - .address_space:  global
        .offset:         72
        .size:           8
        .value_kind:     global_buffer
      - .offset:         80
        .size:           4
        .value_kind:     by_value
      - .address_space:  global
        .offset:         88
        .size:           8
        .value_kind:     global_buffer
      - .address_space:  global
        .offset:         96
        .size:           8
        .value_kind:     global_buffer
    .group_segment_fixed_size: 10800
    .kernarg_segment_align: 8
    .kernarg_segment_size: 104
    .language:       OpenCL C
    .language_version:
      - 2
      - 0
    .max_flat_workgroup_size: 135
    .name:           bluestein_single_back_len1350_dim1_sp_op_CI_CI
    .private_segment_fixed_size: 0
    .sgpr_count:     26
    .sgpr_spill_count: 0
    .symbol:         bluestein_single_back_len1350_dim1_sp_op_CI_CI.kd
    .uniform_work_group_size: 1
    .uses_dynamic_stack: false
    .vgpr_count:     164
    .vgpr_spill_count: 0
    .wavefront_size: 64
amdhsa.target:   amdgcn-amd-amdhsa--gfx950
amdhsa.version:
  - 1
  - 2
...

	.end_amdgpu_metadata
